;; amdgpu-corpus repo=ROCm/rocFFT kind=compiled arch=gfx906 opt=O3
	.text
	.amdgcn_target "amdgcn-amd-amdhsa--gfx906"
	.amdhsa_code_object_version 6
	.protected	fft_rtc_fwd_len1904_factors_17_2_2_7_4_wgs_119_tpt_119_halfLds_sp_op_CI_CI_unitstride_sbrr_dirReg ; -- Begin function fft_rtc_fwd_len1904_factors_17_2_2_7_4_wgs_119_tpt_119_halfLds_sp_op_CI_CI_unitstride_sbrr_dirReg
	.globl	fft_rtc_fwd_len1904_factors_17_2_2_7_4_wgs_119_tpt_119_halfLds_sp_op_CI_CI_unitstride_sbrr_dirReg
	.p2align	8
	.type	fft_rtc_fwd_len1904_factors_17_2_2_7_4_wgs_119_tpt_119_halfLds_sp_op_CI_CI_unitstride_sbrr_dirReg,@function
fft_rtc_fwd_len1904_factors_17_2_2_7_4_wgs_119_tpt_119_halfLds_sp_op_CI_CI_unitstride_sbrr_dirReg: ; @fft_rtc_fwd_len1904_factors_17_2_2_7_4_wgs_119_tpt_119_halfLds_sp_op_CI_CI_unitstride_sbrr_dirReg
; %bb.0:
	s_load_dwordx4 s[8:11], s[4:5], 0x58
	s_load_dwordx4 s[12:15], s[4:5], 0x0
	;; [unrolled: 1-line block ×3, first 2 shown]
	v_mul_u32_u24_e32 v1, 0x227, v0
	v_mov_b32_e32 v3, 0
	v_mov_b32_e32 v41, 0
	s_waitcnt lgkmcnt(0)
	v_cmp_lt_u64_e64 s[0:1], s[14:15], 2
	v_add_u32_sdwa v7, s6, v1 dst_sel:DWORD dst_unused:UNUSED_PAD src0_sel:DWORD src1_sel:WORD_1
	v_mov_b32_e32 v8, v3
	s_and_b64 vcc, exec, s[0:1]
	v_mov_b32_e32 v42, 0
	s_cbranch_vccnz .LBB0_8
; %bb.1:
	s_load_dwordx2 s[0:1], s[4:5], 0x10
	s_add_u32 s2, s18, 8
	s_addc_u32 s3, s19, 0
	s_add_u32 s6, s16, 8
	s_addc_u32 s7, s17, 0
	v_mov_b32_e32 v41, 0
	s_waitcnt lgkmcnt(0)
	s_add_u32 s20, s0, 8
	v_mov_b32_e32 v42, 0
	v_mov_b32_e32 v1, v41
	s_addc_u32 s21, s1, 0
	s_mov_b64 s[22:23], 1
	v_mov_b32_e32 v2, v42
.LBB0_2:                                ; =>This Inner Loop Header: Depth=1
	s_load_dwordx2 s[24:25], s[20:21], 0x0
                                        ; implicit-def: $vgpr5_vgpr6
	s_waitcnt lgkmcnt(0)
	v_or_b32_e32 v4, s25, v8
	v_cmp_ne_u64_e32 vcc, 0, v[3:4]
	s_and_saveexec_b64 s[0:1], vcc
	s_xor_b64 s[26:27], exec, s[0:1]
	s_cbranch_execz .LBB0_4
; %bb.3:                                ;   in Loop: Header=BB0_2 Depth=1
	v_cvt_f32_u32_e32 v4, s24
	v_cvt_f32_u32_e32 v5, s25
	s_sub_u32 s0, 0, s24
	s_subb_u32 s1, 0, s25
	v_mac_f32_e32 v4, 0x4f800000, v5
	v_rcp_f32_e32 v4, v4
	v_mul_f32_e32 v4, 0x5f7ffffc, v4
	v_mul_f32_e32 v5, 0x2f800000, v4
	v_trunc_f32_e32 v5, v5
	v_mac_f32_e32 v4, 0xcf800000, v5
	v_cvt_u32_f32_e32 v5, v5
	v_cvt_u32_f32_e32 v4, v4
	v_mul_lo_u32 v6, s0, v5
	v_mul_hi_u32 v9, s0, v4
	v_mul_lo_u32 v11, s1, v4
	v_mul_lo_u32 v10, s0, v4
	v_add_u32_e32 v6, v9, v6
	v_add_u32_e32 v6, v6, v11
	v_mul_hi_u32 v9, v4, v10
	v_mul_lo_u32 v11, v4, v6
	v_mul_hi_u32 v13, v4, v6
	v_mul_hi_u32 v12, v5, v10
	v_mul_lo_u32 v10, v5, v10
	v_mul_hi_u32 v14, v5, v6
	v_add_co_u32_e32 v9, vcc, v9, v11
	v_addc_co_u32_e32 v11, vcc, 0, v13, vcc
	v_mul_lo_u32 v6, v5, v6
	v_add_co_u32_e32 v9, vcc, v9, v10
	v_addc_co_u32_e32 v9, vcc, v11, v12, vcc
	v_addc_co_u32_e32 v10, vcc, 0, v14, vcc
	v_add_co_u32_e32 v6, vcc, v9, v6
	v_addc_co_u32_e32 v9, vcc, 0, v10, vcc
	v_add_co_u32_e32 v4, vcc, v4, v6
	v_addc_co_u32_e32 v5, vcc, v5, v9, vcc
	v_mul_lo_u32 v6, s0, v5
	v_mul_hi_u32 v9, s0, v4
	v_mul_lo_u32 v10, s1, v4
	v_mul_lo_u32 v11, s0, v4
	v_add_u32_e32 v6, v9, v6
	v_add_u32_e32 v6, v6, v10
	v_mul_lo_u32 v12, v4, v6
	v_mul_hi_u32 v13, v4, v11
	v_mul_hi_u32 v14, v4, v6
	v_mul_hi_u32 v10, v5, v11
	v_mul_lo_u32 v11, v5, v11
	v_mul_hi_u32 v9, v5, v6
	v_add_co_u32_e32 v12, vcc, v13, v12
	v_addc_co_u32_e32 v13, vcc, 0, v14, vcc
	v_mul_lo_u32 v6, v5, v6
	v_add_co_u32_e32 v11, vcc, v12, v11
	v_addc_co_u32_e32 v10, vcc, v13, v10, vcc
	v_addc_co_u32_e32 v9, vcc, 0, v9, vcc
	v_add_co_u32_e32 v6, vcc, v10, v6
	v_addc_co_u32_e32 v9, vcc, 0, v9, vcc
	v_add_co_u32_e32 v6, vcc, v4, v6
	v_addc_co_u32_e32 v9, vcc, v5, v9, vcc
	v_mad_u64_u32 v[4:5], s[0:1], v7, v9, 0
	v_mul_hi_u32 v10, v7, v6
	v_add_co_u32_e32 v11, vcc, v10, v4
	v_addc_co_u32_e32 v12, vcc, 0, v5, vcc
	v_mad_u64_u32 v[4:5], s[0:1], v8, v6, 0
	v_mad_u64_u32 v[9:10], s[0:1], v8, v9, 0
	v_add_co_u32_e32 v4, vcc, v11, v4
	v_addc_co_u32_e32 v4, vcc, v12, v5, vcc
	v_addc_co_u32_e32 v5, vcc, 0, v10, vcc
	v_add_co_u32_e32 v9, vcc, v4, v9
	v_addc_co_u32_e32 v6, vcc, 0, v5, vcc
	v_mul_lo_u32 v10, s25, v9
	v_mul_lo_u32 v11, s24, v6
	v_mad_u64_u32 v[4:5], s[0:1], s24, v9, 0
	v_add3_u32 v5, v5, v11, v10
	v_sub_u32_e32 v10, v8, v5
	v_mov_b32_e32 v11, s25
	v_sub_co_u32_e32 v4, vcc, v7, v4
	v_subb_co_u32_e64 v10, s[0:1], v10, v11, vcc
	v_subrev_co_u32_e64 v11, s[0:1], s24, v4
	v_subbrev_co_u32_e64 v10, s[0:1], 0, v10, s[0:1]
	v_cmp_le_u32_e64 s[0:1], s25, v10
	v_cndmask_b32_e64 v12, 0, -1, s[0:1]
	v_cmp_le_u32_e64 s[0:1], s24, v11
	v_cndmask_b32_e64 v11, 0, -1, s[0:1]
	v_cmp_eq_u32_e64 s[0:1], s25, v10
	v_cndmask_b32_e64 v10, v12, v11, s[0:1]
	v_add_co_u32_e64 v11, s[0:1], 2, v9
	v_addc_co_u32_e64 v12, s[0:1], 0, v6, s[0:1]
	v_add_co_u32_e64 v13, s[0:1], 1, v9
	v_addc_co_u32_e64 v14, s[0:1], 0, v6, s[0:1]
	v_subb_co_u32_e32 v5, vcc, v8, v5, vcc
	v_cmp_ne_u32_e64 s[0:1], 0, v10
	v_cmp_le_u32_e32 vcc, s25, v5
	v_cndmask_b32_e64 v10, v14, v12, s[0:1]
	v_cndmask_b32_e64 v12, 0, -1, vcc
	v_cmp_le_u32_e32 vcc, s24, v4
	v_cndmask_b32_e64 v4, 0, -1, vcc
	v_cmp_eq_u32_e32 vcc, s25, v5
	v_cndmask_b32_e32 v4, v12, v4, vcc
	v_cmp_ne_u32_e32 vcc, 0, v4
	v_cndmask_b32_e64 v4, v13, v11, s[0:1]
	v_cndmask_b32_e32 v6, v6, v10, vcc
	v_cndmask_b32_e32 v5, v9, v4, vcc
.LBB0_4:                                ;   in Loop: Header=BB0_2 Depth=1
	s_andn2_saveexec_b64 s[0:1], s[26:27]
	s_cbranch_execz .LBB0_6
; %bb.5:                                ;   in Loop: Header=BB0_2 Depth=1
	v_cvt_f32_u32_e32 v4, s24
	s_sub_i32 s26, 0, s24
	v_rcp_iflag_f32_e32 v4, v4
	v_mul_f32_e32 v4, 0x4f7ffffe, v4
	v_cvt_u32_f32_e32 v4, v4
	v_mul_lo_u32 v5, s26, v4
	v_mul_hi_u32 v5, v4, v5
	v_add_u32_e32 v4, v4, v5
	v_mul_hi_u32 v4, v7, v4
	v_mul_lo_u32 v5, v4, s24
	v_add_u32_e32 v6, 1, v4
	v_sub_u32_e32 v5, v7, v5
	v_subrev_u32_e32 v9, s24, v5
	v_cmp_le_u32_e32 vcc, s24, v5
	v_cndmask_b32_e32 v5, v5, v9, vcc
	v_cndmask_b32_e32 v4, v4, v6, vcc
	v_add_u32_e32 v6, 1, v4
	v_cmp_le_u32_e32 vcc, s24, v5
	v_cndmask_b32_e32 v5, v4, v6, vcc
	v_mov_b32_e32 v6, v3
.LBB0_6:                                ;   in Loop: Header=BB0_2 Depth=1
	s_or_b64 exec, exec, s[0:1]
	v_mul_lo_u32 v4, v6, s24
	v_mul_lo_u32 v11, v5, s25
	v_mad_u64_u32 v[9:10], s[0:1], v5, s24, 0
	s_load_dwordx2 s[0:1], s[6:7], 0x0
	s_load_dwordx2 s[24:25], s[2:3], 0x0
	v_add3_u32 v4, v10, v11, v4
	v_sub_co_u32_e32 v7, vcc, v7, v9
	v_subb_co_u32_e32 v4, vcc, v8, v4, vcc
	s_waitcnt lgkmcnt(0)
	v_mul_lo_u32 v8, s0, v4
	v_mul_lo_u32 v9, s1, v7
	v_mad_u64_u32 v[41:42], s[0:1], s0, v7, v[41:42]
	s_add_u32 s22, s22, 1
	s_addc_u32 s23, s23, 0
	s_add_u32 s2, s2, 8
	v_mul_lo_u32 v4, s24, v4
	v_mul_lo_u32 v10, s25, v7
	v_mad_u64_u32 v[1:2], s[0:1], s24, v7, v[1:2]
	v_add3_u32 v42, v9, v42, v8
	s_addc_u32 s3, s3, 0
	v_mov_b32_e32 v7, s14
	s_add_u32 s6, s6, 8
	v_mov_b32_e32 v8, s15
	s_addc_u32 s7, s7, 0
	v_cmp_ge_u64_e32 vcc, s[22:23], v[7:8]
	s_add_u32 s20, s20, 8
	v_add3_u32 v2, v10, v2, v4
	s_addc_u32 s21, s21, 0
	s_cbranch_vccnz .LBB0_9
; %bb.7:                                ;   in Loop: Header=BB0_2 Depth=1
	v_mov_b32_e32 v8, v6
	v_mov_b32_e32 v7, v5
	s_branch .LBB0_2
.LBB0_8:
	v_mov_b32_e32 v1, v41
	v_mov_b32_e32 v5, v7
	;; [unrolled: 1-line block ×4, first 2 shown]
.LBB0_9:
	s_load_dwordx2 s[0:1], s[4:5], 0x28
	s_mov_b32 s4, 0x226b903
	v_mul_hi_u32 v3, v0, s4
	s_lshl_b64 s[2:3], s[14:15], 3
	s_add_u32 s4, s18, s2
	s_waitcnt lgkmcnt(0)
	v_cmp_gt_u64_e32 vcc, s[0:1], v[5:6]
	v_mul_u32_u24_e32 v3, 0x77, v3
	v_sub_u32_e32 v3, v0, v3
	s_movk_i32 s0, 0x70
	v_cmp_gt_u32_e64 s[0:1], s0, v3
	s_addc_u32 s5, s19, s3
	s_and_b64 s[14:15], vcc, s[0:1]
	v_mov_b32_e32 v8, 0
	v_mov_b32_e32 v7, 0
                                        ; implicit-def: $vgpr10
                                        ; implicit-def: $vgpr12
                                        ; implicit-def: $vgpr14
                                        ; implicit-def: $vgpr16
                                        ; implicit-def: $vgpr18
                                        ; implicit-def: $vgpr20
                                        ; implicit-def: $vgpr22
                                        ; implicit-def: $vgpr24
                                        ; implicit-def: $vgpr28
                                        ; implicit-def: $vgpr26
                                        ; implicit-def: $vgpr30
                                        ; implicit-def: $vgpr32
                                        ; implicit-def: $vgpr34
                                        ; implicit-def: $vgpr36
                                        ; implicit-def: $vgpr38
                                        ; implicit-def: $vgpr40
	s_and_saveexec_b64 s[6:7], s[14:15]
	s_cbranch_execz .LBB0_11
; %bb.10:
	s_add_u32 s2, s16, s2
	s_addc_u32 s3, s17, s3
	s_load_dwordx2 s[2:3], s[2:3], 0x0
	v_mov_b32_e32 v10, s9
	v_mov_b32_e32 v4, 0
	v_or_b32_e32 v15, 0x380, v3
	v_mov_b32_e32 v16, v4
	s_waitcnt lgkmcnt(0)
	v_mul_lo_u32 v0, s3, v5
	v_mul_lo_u32 v9, s2, v6
	v_mad_u64_u32 v[7:8], s[2:3], s2, v5, 0
	v_lshlrev_b64 v[15:16], 3, v[15:16]
	v_add3_u32 v8, v8, v9, v0
	v_lshlrev_b64 v[7:8], 3, v[7:8]
	v_add_co_u32_e64 v0, s[2:3], s8, v7
	v_addc_co_u32_e64 v9, s[2:3], v10, v8, s[2:3]
	v_lshlrev_b64 v[7:8], 3, v[41:42]
	v_add_co_u32_e64 v0, s[2:3], v0, v7
	v_addc_co_u32_e64 v17, s[2:3], v9, v8, s[2:3]
	;; [unrolled: 3-line block ×3, first 2 shown]
	s_movk_i32 s2, 0x1000
	v_add_co_u32_e64 v43, s[2:3], s2, v41
	v_addc_co_u32_e64 v44, s[2:3], 0, v42, s[2:3]
	v_add_co_u32_e64 v45, s[2:3], v0, v15
	v_addc_co_u32_e64 v46, s[2:3], v17, v16, s[2:3]
	s_movk_i32 s2, 0x2000
	v_add_co_u32_e64 v47, s[2:3], s2, v41
	v_addc_co_u32_e64 v48, s[2:3], 0, v42, s[2:3]
	s_movk_i32 s2, 0x3000
	v_or_b32_e32 v15, 0x700, v3
	v_mov_b32_e32 v16, v4
	v_add_co_u32_e64 v49, s[2:3], s2, v41
	v_lshlrev_b64 v[15:16], 3, v[15:16]
	v_addc_co_u32_e64 v50, s[2:3], 0, v42, s[2:3]
	v_add_co_u32_e64 v51, s[2:3], v0, v15
	global_load_dwordx2 v[7:8], v[41:42], off
	global_load_dwordx2 v[9:10], v[41:42], off offset:896
	global_load_dwordx2 v[11:12], v[41:42], off offset:1792
	;; [unrolled: 1-line block ×3, first 2 shown]
	v_addc_co_u32_e64 v52, s[2:3], v17, v16, s[2:3]
	global_load_dwordx2 v[15:16], v[41:42], off offset:3584
	global_load_dwordx2 v[17:18], v[43:44], off offset:384
	;; [unrolled: 1-line block ×6, first 2 shown]
	global_load_dwordx2 v[23:24], v[45:46], off
	global_load_dwordx2 v[27:28], v[43:44], off offset:3968
	global_load_dwordx2 v[31:32], v[47:48], off offset:2560
	;; [unrolled: 1-line block ×5, first 2 shown]
	global_load_dwordx2 v[39:40], v[51:52], off
.LBB0_11:
	s_or_b64 exec, exec, s[6:7]
	s_waitcnt vmcnt(0)
	v_add_f32_e32 v49, v9, v39
	v_mul_f32_e32 v0, 0x3f6eb680, v49
	v_add_f32_e32 v53, v11, v37
	v_sub_f32_e32 v43, v10, v40
	v_mov_b32_e32 v4, v0
	v_mul_f32_e32 v41, 0x3f3d2fb0, v53
	v_fmac_f32_e32 v4, 0xbeb8f4ab, v43
	v_sub_f32_e32 v45, v12, v38
	v_mov_b32_e32 v42, v41
	v_add_f32_e32 v4, v7, v4
	v_fmac_f32_e32 v42, 0xbf2c7751, v45
	v_add_f32_e32 v52, v13, v35
	v_add_f32_e32 v4, v42, v4
	v_mul_f32_e32 v42, 0x3ee437d1, v52
	v_sub_f32_e32 v47, v14, v36
	v_mov_b32_e32 v44, v42
	v_fmac_f32_e32 v44, 0xbf65296c, v47
	v_add_f32_e32 v55, v15, v33
	v_add_f32_e32 v4, v44, v4
	v_mul_f32_e32 v44, 0x3dbcf732, v55
	v_sub_f32_e32 v50, v16, v34
	v_mov_b32_e32 v46, v44
	;; [unrolled: 6-line block ×6, first 2 shown]
	v_fmac_f32_e32 v64, 0xbe3c28d5, v63
	v_add_f32_e32 v4, v64, v4
	s_mov_b32 s17, 0x3f6eb680
	s_mov_b32 s16, 0x3f3d2fb0
	;; [unrolled: 1-line block ×8, first 2 shown]
	s_and_saveexec_b64 s[2:3], s[0:1]
	s_cbranch_execz .LBB0_13
; %bb.12:
	v_mul_f32_e32 v64, 0xbe3c28d5, v43
	v_mov_b32_e32 v65, v64
	v_mul_f32_e32 v66, 0x3eb8f4ab, v45
	v_fmac_f32_e32 v65, 0xbf7ba420, v49
	v_mov_b32_e32 v67, v66
	v_add_f32_e32 v65, v7, v65
	v_fmac_f32_e32 v67, 0x3f6eb680, v53
	v_add_f32_e32 v65, v67, v65
	v_mul_f32_e32 v67, 0xbf06c442, v47
	v_mov_b32_e32 v68, v67
	v_fmac_f32_e32 v68, 0xbf59a7d5, v52
	v_add_f32_e32 v65, v68, v65
	v_mul_f32_e32 v68, 0x3f2c7751, v50
	v_mov_b32_e32 v69, v68
	;; [unrolled: 4-line block ×3, first 2 shown]
	v_fmac_f32_e32 v70, 0xbf1a4643, v58
	v_add_f32_e32 v65, v70, v65
	v_mul_f32_e32 v70, 0x3f65296c, v59
	v_fma_f32 v64, v49, s6, -v64
	v_mov_b32_e32 v71, v70
	v_add_f32_e32 v64, v7, v64
	v_fma_f32 v66, v53, s17, -v66
	v_fmac_f32_e32 v71, 0x3ee437d1, v57
	v_add_f32_e32 v64, v66, v64
	v_fma_f32 v66, v52, s7, -v67
	v_add_f32_e32 v65, v71, v65
	v_mul_f32_e32 v71, 0xbf763a35, v61
	v_add_f32_e32 v64, v66, v64
	v_fma_f32 v66, v55, s16, -v68
	v_mov_b32_e32 v72, v71
	v_add_f32_e32 v64, v66, v64
	v_fma_f32 v66, v58, s8, -v69
	v_fmac_f32_e32 v72, 0xbe8c1d8e, v60
	v_add_f32_e32 v64, v66, v64
	v_fma_f32 v66, v57, s15, -v70
	v_add_f32_e32 v65, v72, v65
	v_mul_f32_e32 v72, 0x3f7ee86f, v63
	v_add_f32_e32 v64, v66, v64
	v_fma_f32 v66, v60, s9, -v71
	v_add_f32_e32 v64, v66, v64
	v_fma_f32 v66, v62, s14, -v72
	v_add_f32_e32 v64, v66, v64
	v_mul_f32_e32 v66, 0xbf06c442, v43
	v_mov_b32_e32 v67, v66
	v_mul_f32_e32 v68, 0x3f65296c, v45
	v_fmac_f32_e32 v67, 0xbf59a7d5, v49
	v_mov_b32_e32 v69, v68
	v_add_f32_e32 v67, v7, v67
	v_fmac_f32_e32 v69, 0x3ee437d1, v53
	v_add_f32_e32 v67, v69, v67
	v_mul_f32_e32 v69, 0xbf7ee86f, v47
	v_mov_b32_e32 v70, v69
	v_fmac_f32_e32 v70, 0x3dbcf732, v52
	v_add_f32_e32 v67, v70, v67
	v_mul_f32_e32 v70, 0x3f4c4adb, v50
	v_mov_b32_e32 v71, v70
	v_fmac_f32_e32 v71, 0xbf1a4643, v55
	v_add_f32_e32 v67, v71, v67
	v_mul_f32_e32 v71, 0xbeb8f4ab, v56
	v_mov_b32_e32 v73, v72
	v_mov_b32_e32 v72, v71
	v_fmac_f32_e32 v72, 0x3f6eb680, v58
	v_fmac_f32_e32 v73, 0x3dbcf732, v62
	v_add_f32_e32 v67, v72, v67
	v_mul_f32_e32 v72, 0xbe3c28d5, v59
	v_fma_f32 v66, v49, s7, -v66
	v_add_f32_e32 v65, v73, v65
	v_mov_b32_e32 v73, v72
	v_add_f32_e32 v66, v7, v66
	v_fma_f32 v68, v53, s15, -v68
	v_fmac_f32_e32 v73, 0xbf7ba420, v57
	v_add_f32_e32 v66, v68, v66
	v_fma_f32 v68, v52, s14, -v69
	v_add_f32_e32 v67, v73, v67
	v_mul_f32_e32 v73, 0x3f2c7751, v61
	v_add_f32_e32 v66, v68, v66
	v_fma_f32 v68, v55, s8, -v70
	v_mov_b32_e32 v74, v73
	v_add_f32_e32 v66, v68, v66
	v_fma_f32 v68, v58, s17, -v71
	v_fmac_f32_e32 v74, 0x3f3d2fb0, v60
	v_add_f32_e32 v66, v68, v66
	v_fma_f32 v68, v57, s6, -v72
	v_add_f32_e32 v67, v74, v67
	v_mul_f32_e32 v74, 0xbf763a35, v63
	v_add_f32_e32 v66, v68, v66
	v_fma_f32 v68, v60, s16, -v73
	v_add_f32_e32 v66, v68, v66
	v_fma_f32 v68, v62, s9, -v74
	v_add_f32_e32 v66, v68, v66
	v_mul_f32_e32 v68, 0xbf4c4adb, v43
	v_mov_b32_e32 v69, v68
	v_mul_f32_e32 v70, 0x3f763a35, v45
	v_fmac_f32_e32 v69, 0xbf1a4643, v49
	v_mov_b32_e32 v71, v70
	v_add_f32_e32 v69, v7, v69
	v_fmac_f32_e32 v71, 0xbe8c1d8e, v53
	v_add_f32_e32 v69, v71, v69
	v_mul_f32_e32 v71, 0xbeb8f4ab, v47
	v_mov_b32_e32 v72, v71
	v_fmac_f32_e32 v72, 0x3f6eb680, v52
	v_add_f32_e32 v69, v72, v69
	v_mul_f32_e32 v72, 0xbf06c442, v50
	v_mov_b32_e32 v73, v72
	v_fmac_f32_e32 v73, 0xbf59a7d5, v55
	v_add_f32_e32 v69, v73, v69
	v_mul_f32_e32 v73, 0x3f7ee86f, v56
	v_mov_b32_e32 v75, v74
	v_mov_b32_e32 v74, v73
	v_fmac_f32_e32 v74, 0x3dbcf732, v58
	v_fmac_f32_e32 v75, 0xbe8c1d8e, v62
	v_add_f32_e32 v69, v74, v69
	v_mul_f32_e32 v74, 0xbf2c7751, v59
	v_fma_f32 v68, v49, s8, -v68
	v_add_f32_e32 v67, v75, v67
	;; [unrolled: 48-line block ×5, first 2 shown]
	v_mov_b32_e32 v81, v80
	v_add_f32_e32 v74, v7, v74
	v_fma_f32 v76, v53, s8, -v76
	v_fmac_f32_e32 v81, 0x3f6eb680, v57
	v_add_f32_e32 v74, v76, v74
	v_fma_f32 v76, v52, s6, -v77
	v_add_f32_e32 v75, v81, v75
	v_mul_f32_e32 v81, 0xbf7ee86f, v61
	v_add_f32_e32 v74, v76, v74
	v_fma_f32 v76, v55, s9, -v78
	v_mov_b32_e32 v82, v81
	v_add_f32_e32 v74, v76, v74
	v_fma_f32 v76, v58, s16, -v79
	v_fmac_f32_e32 v82, 0x3dbcf732, v60
	v_add_f32_e32 v74, v76, v74
	v_fma_f32 v76, v57, s17, -v80
	v_add_f32_e32 v75, v82, v75
	v_mul_f32_e32 v82, 0xbf06c442, v63
	v_add_f32_e32 v74, v76, v74
	v_fma_f32 v76, v60, s14, -v81
	v_add_f32_e32 v74, v76, v74
	v_fma_f32 v76, v62, s7, -v82
	v_add_f32_e32 v74, v76, v74
	v_mul_f32_e32 v76, 0xbf2c7751, v43
	v_mov_b32_e32 v77, v76
	v_mul_f32_e32 v78, 0xbf7ee86f, v45
	v_fmac_f32_e32 v77, 0x3f3d2fb0, v49
	v_mov_b32_e32 v79, v78
	v_add_f32_e32 v77, v7, v77
	v_fmac_f32_e32 v79, 0x3dbcf732, v53
	v_add_f32_e32 v77, v79, v77
	v_mul_f32_e32 v79, 0xbf4c4adb, v47
	v_mul_f32_e32 v43, 0xbeb8f4ab, v43
	v_mov_b32_e32 v80, v79
	v_fma_f32 v49, v49, s16, -v76
	v_sub_f32_e32 v0, v0, v43
	v_fmac_f32_e32 v80, 0xbf1a4643, v52
	v_add_f32_e32 v49, v7, v49
	v_add_f32_e32 v0, v7, v0
	;; [unrolled: 1-line block ×4, first 2 shown]
	v_mul_f32_e32 v80, 0xbe3c28d5, v50
	v_add_f32_e32 v7, v7, v11
	v_mov_b32_e32 v81, v80
	v_add_f32_e32 v7, v7, v13
	v_fmac_f32_e32 v81, 0xbf7ba420, v55
	v_add_f32_e32 v7, v7, v15
	v_add_f32_e32 v77, v81, v77
	v_mul_f32_e32 v81, 0x3f06c442, v56
	v_add_f32_e32 v7, v7, v17
	v_mov_b32_e32 v83, v82
	v_mov_b32_e32 v82, v81
	v_add_f32_e32 v7, v7, v19
	v_fmac_f32_e32 v82, 0xbf59a7d5, v58
	v_fma_f32 v53, v53, s14, -v78
	v_add_f32_e32 v7, v7, v21
	v_fmac_f32_e32 v83, 0xbf59a7d5, v62
	v_add_f32_e32 v77, v82, v77
	v_mul_f32_e32 v82, 0x3f763a35, v59
	v_add_f32_e32 v49, v53, v49
	v_fma_f32 v52, v52, s8, -v79
	v_mul_f32_e32 v45, 0xbf2c7751, v45
	v_add_f32_e32 v7, v7, v23
	v_add_f32_e32 v75, v83, v75
	v_mov_b32_e32 v83, v82
	v_add_f32_e32 v49, v52, v49
	v_fma_f32 v52, v55, s6, -v80
	v_mul_f32_e32 v47, 0xbf65296c, v47
	v_sub_f32_e32 v41, v41, v45
	v_add_f32_e32 v7, v7, v27
	v_fmac_f32_e32 v83, 0xbe8c1d8e, v57
	v_add_f32_e32 v49, v52, v49
	v_fma_f32 v52, v58, s7, -v81
	v_mul_f32_e32 v50, 0xbf7ee86f, v50
	v_add_f32_e32 v0, v41, v0
	v_sub_f32_e32 v41, v42, v47
	v_add_f32_e32 v7, v7, v25
	v_add_f32_e32 v77, v83, v77
	v_mul_f32_e32 v83, 0x3f65296c, v61
	v_add_f32_e32 v49, v52, v49
	v_mul_f32_e32 v52, 0xbf763a35, v56
	v_add_f32_e32 v0, v41, v0
	v_sub_f32_e32 v41, v44, v50
	v_add_f32_e32 v7, v7, v29
	v_mov_b32_e32 v84, v83
	v_mul_f32_e32 v53, 0xbf4c4adb, v59
	v_add_f32_e32 v0, v41, v0
	v_sub_f32_e32 v41, v46, v52
	v_add_f32_e32 v7, v7, v31
	v_fmac_f32_e32 v84, 0x3ee437d1, v60
	v_mul_f32_e32 v55, 0xbf06c442, v61
	v_add_f32_e32 v0, v41, v0
	v_sub_f32_e32 v41, v48, v53
	v_add_f32_e32 v7, v7, v33
	v_add_f32_e32 v77, v84, v77
	v_mul_f32_e32 v84, 0x3eb8f4ab, v63
	v_mul_f32_e32 v56, 0xbe3c28d5, v63
	v_fma_f32 v57, v57, s9, -v82
	v_add_f32_e32 v0, v41, v0
	v_sub_f32_e32 v41, v51, v55
	v_add_f32_e32 v7, v7, v35
	v_mov_b32_e32 v85, v84
	v_add_f32_e32 v49, v57, v49
	v_fma_f32 v57, v60, s15, -v83
	v_add_f32_e32 v0, v41, v0
	v_sub_f32_e32 v41, v54, v56
	v_add_f32_e32 v7, v7, v37
	s_movk_i32 s18, 0x44
	v_fmac_f32_e32 v85, 0x3f6eb680, v62
	v_add_f32_e32 v49, v57, v49
	v_fma_f32 v57, v62, s17, -v84
	v_add_f32_e32 v0, v41, v0
	v_add_f32_e32 v7, v7, v39
	v_mad_u32_u24 v41, v3, s18, 0
	v_add_f32_e32 v77, v85, v77
	v_add_f32_e32 v49, v57, v49
	ds_write2_b32 v41, v7, v0 offset1:1
	ds_write2_b32 v41, v49, v74 offset0:2 offset1:3
	ds_write2_b32 v41, v72, v70 offset0:4 offset1:5
	;; [unrolled: 1-line block ×7, first 2 shown]
	ds_write_b32 v41, v4 offset:64
.LBB0_13:
	s_or_b64 exec, exec, s[2:3]
	v_sub_f32_e32 v70, v9, v39
	v_add_f32_e32 v68, v10, v40
	v_mul_f32_e32 v71, 0xbeb8f4ab, v70
	v_sub_f32_e32 v67, v11, v37
	v_fma_f32 v0, v68, s17, -v71
	v_add_f32_e32 v65, v12, v38
	v_mul_f32_e32 v69, 0xbf2c7751, v67
	v_sub_f32_e32 v62, v13, v35
	v_add_f32_e32 v0, v8, v0
	v_fma_f32 v7, v65, s16, -v69
	v_add_f32_e32 v61, v14, v36
	v_mul_f32_e32 v66, 0xbf65296c, v62
	v_sub_f32_e32 v59, v15, v33
	v_add_f32_e32 v0, v7, v0
	;; [unrolled: 5-line block ×5, first 2 shown]
	v_fma_f32 v7, v31, s8, -v57
	v_add_f32_e32 v29, v22, v26
	v_mul_f32_e32 v35, 0xbf06c442, v25
	v_add_f32_e32 v0, v7, v0
	v_fma_f32 v7, v29, s7, -v35
	v_add_f32_e32 v63, v7, v0
	v_lshl_add_u32 v0, v3, 2, 0
	v_add_u32_e32 v9, 0xe00, v0
	v_add_u32_e32 v13, 0x200, v0
	;; [unrolled: 1-line block ×7, first 2 shown]
	s_waitcnt lgkmcnt(0)
	s_barrier
	ds_read2_b32 v[47:48], v0 offset1:119
	ds_read2_b32 v[53:54], v9 offset0:56 offset1:175
	ds_read2_b32 v[45:46], v13 offset0:110 offset1:229
	;; [unrolled: 1-line block ×7, first 2 shown]
	v_sub_f32_e32 v23, v23, v27
	v_add_f32_e32 v7, v24, v28
	v_mul_f32_e32 v27, 0xbe3c28d5, v23
	v_fma_f32 v72, v7, s6, -v27
	v_add_f32_e32 v63, v72, v63
	s_waitcnt lgkmcnt(0)
	s_barrier
	s_and_saveexec_b64 s[2:3], s[0:1]
	s_cbranch_execz .LBB0_15
; %bb.14:
	v_add_f32_e32 v10, v8, v10
	v_add_f32_e32 v10, v10, v12
	v_add_f32_e32 v10, v10, v14
	v_add_f32_e32 v10, v10, v16
	v_add_f32_e32 v10, v10, v18
	v_add_f32_e32 v10, v10, v20
	v_add_f32_e32 v10, v10, v22
	v_add_f32_e32 v10, v10, v24
	v_add_f32_e32 v10, v10, v28
	v_add_f32_e32 v10, v10, v26
	v_add_f32_e32 v10, v10, v30
	v_add_f32_e32 v10, v10, v32
	v_add_f32_e32 v10, v10, v34
	v_add_f32_e32 v10, v10, v36
	v_add_f32_e32 v10, v10, v38
	v_mul_f32_e32 v38, 0xbe3c28d5, v70
	v_mul_f32_e32 v72, 0x3f6eb680, v68
	v_add_f32_e32 v10, v10, v40
	v_mul_f32_e32 v14, 0xbf2c7751, v70
	s_mov_b32 s6, 0x3f3d2fb0
	v_mul_f32_e32 v18, 0xbf65296c, v70
	s_mov_b32 s1, 0x3ee437d1
	;; [unrolled: 2-line block ×4, first 2 shown]
	v_mul_f32_e32 v30, 0xbf4c4adb, v70
	v_mul_f32_e32 v34, 0xbf06c442, v70
	s_mov_b32 s9, 0xbf59a7d5
	s_mov_b32 s14, 0xbf7ba420
	v_mov_b32_e32 v40, v38
	v_mul_f32_e32 v73, 0x3f3d2fb0, v65
	v_add_f32_e32 v12, v72, v71
	v_fma_f32 v16, v68, s6, -v14
	v_fmac_f32_e32 v14, 0x3f3d2fb0, v68
	v_fma_f32 v20, v68, s1, -v18
	v_fmac_f32_e32 v18, 0x3ee437d1, v68
	;; [unrolled: 2-line block ×6, first 2 shown]
	v_fmac_f32_e32 v40, 0xbf7ba420, v68
	v_fma_f32 v38, v68, s14, -v38
	v_add_f32_e32 v12, v8, v12
	v_add_f32_e32 v14, v8, v14
	;; [unrolled: 1-line block ×17, first 2 shown]
	v_mul_f32_e32 v38, 0xbf7ee86f, v67
	v_fma_f32 v68, v65, s0, -v38
	v_fmac_f32_e32 v38, 0x3dbcf732, v65
	v_add_f32_e32 v14, v38, v14
	v_mul_f32_e32 v38, 0xbf4c4adb, v67
	v_add_f32_e32 v16, v68, v16
	v_fma_f32 v68, v65, s8, -v38
	v_fmac_f32_e32 v38, 0xbf1a4643, v65
	v_add_f32_e32 v18, v38, v18
	v_mul_f32_e32 v38, 0xbe3c28d5, v67
	v_add_f32_e32 v20, v68, v20
	;; [unrolled: 5-line block ×5, first 2 shown]
	v_fma_f32 v68, v65, s1, -v38
	v_fmac_f32_e32 v38, 0x3ee437d1, v65
	v_add_f32_e32 v34, v38, v34
	v_mul_f32_e32 v38, 0x3eb8f4ab, v67
	s_mov_b32 s15, 0x3f6eb680
	v_mul_f32_e32 v74, 0x3ee437d1, v61
	v_mov_b32_e32 v67, v38
	v_fma_f32 v38, v65, s15, -v38
	v_add_f32_e32 v8, v38, v8
	v_add_f32_e32 v38, v74, v66
	v_add_f32_e32 v12, v38, v12
	v_mul_f32_e32 v38, 0xbf4c4adb, v62
	v_fmac_f32_e32 v67, 0x3f6eb680, v65
	v_fma_f32 v65, v61, s8, -v38
	v_fmac_f32_e32 v38, 0xbf1a4643, v61
	v_add_f32_e32 v14, v38, v14
	v_mul_f32_e32 v38, 0x3e3c28d5, v62
	v_add_f32_e32 v16, v65, v16
	v_fma_f32 v65, v61, s14, -v38
	v_fmac_f32_e32 v38, 0xbf7ba420, v61
	v_add_f32_e32 v18, v38, v18
	v_mul_f32_e32 v38, 0x3f763a35, v62
	v_add_f32_e32 v20, v65, v20
	v_fma_f32 v65, v61, s7, -v38
	v_fmac_f32_e32 v38, 0xbe8c1d8e, v61
	v_add_f32_e32 v22, v38, v22
	v_mul_f32_e32 v38, 0x3f2c7751, v62
	v_add_f32_e32 v24, v65, v24
	v_fma_f32 v65, v61, s6, -v38
	v_fmac_f32_e32 v38, 0x3f3d2fb0, v61
	v_add_f32_e32 v26, v38, v26
	v_mul_f32_e32 v38, 0xbeb8f4ab, v62
	v_add_f32_e32 v28, v65, v28
	v_fma_f32 v65, v61, s15, -v38
	v_fmac_f32_e32 v38, 0x3f6eb680, v61
	v_add_f32_e32 v30, v38, v30
	v_mul_f32_e32 v38, 0xbf7ee86f, v62
	v_add_f32_e32 v32, v65, v32
	v_fma_f32 v65, v61, s0, -v38
	v_fmac_f32_e32 v38, 0x3dbcf732, v61
	v_add_f32_e32 v34, v38, v34
	v_mul_f32_e32 v38, 0xbf06c442, v62
	v_mul_f32_e32 v75, 0x3dbcf732, v58
	v_mov_b32_e32 v62, v38
	v_fma_f32 v38, v61, s9, -v38
	v_add_f32_e32 v8, v38, v8
	v_add_f32_e32 v38, v75, v64
	v_add_f32_e32 v12, v38, v12
	v_mul_f32_e32 v38, 0xbe3c28d5, v59
	v_fmac_f32_e32 v62, 0xbf59a7d5, v61
	v_fma_f32 v61, v58, s14, -v38
	v_fmac_f32_e32 v38, 0xbf7ba420, v58
	v_add_f32_e32 v14, v38, v14
	v_mul_f32_e32 v38, 0x3f763a35, v59
	v_add_f32_e32 v16, v61, v16
	v_fma_f32 v61, v58, s7, -v38
	v_fmac_f32_e32 v38, 0xbe8c1d8e, v58
	v_add_f32_e32 v18, v38, v18
	v_mul_f32_e32 v38, 0x3eb8f4ab, v59
	v_add_f32_e32 v20, v61, v20
	v_fma_f32 v61, v58, s15, -v38
	v_fmac_f32_e32 v38, 0x3f6eb680, v58
	v_add_f32_e32 v22, v38, v22
	v_mul_f32_e32 v38, 0xbf65296c, v59
	v_add_f32_e32 v24, v61, v24
	v_fma_f32 v61, v58, s1, -v38
	v_fmac_f32_e32 v38, 0x3ee437d1, v58
	v_add_f32_e32 v26, v38, v26
	v_mul_f32_e32 v38, 0xbf06c442, v59
	v_add_f32_e32 v28, v61, v28
	v_fma_f32 v61, v58, s9, -v38
	v_fmac_f32_e32 v38, 0xbf59a7d5, v58
	v_add_f32_e32 v30, v38, v30
	v_mul_f32_e32 v38, 0x3f4c4adb, v59
	v_add_f32_e32 v32, v61, v32
	v_fma_f32 v61, v58, s8, -v38
	v_fmac_f32_e32 v38, 0xbf1a4643, v58
	v_add_f32_e32 v34, v38, v34
	v_mul_f32_e32 v38, 0x3f2c7751, v59
	;; [unrolled: 37-line block ×3, first 2 shown]
	v_mov_b32_e32 v39, v38
	v_mul_f32_e32 v77, 0xbf1a4643, v31
	v_fmac_f32_e32 v39, 0xbf1a4643, v37
	v_fma_f32 v37, v37, s8, -v38
	v_add_f32_e32 v8, v37, v8
	v_add_f32_e32 v37, v77, v57
	;; [unrolled: 1-line block ×3, first 2 shown]
	v_mul_f32_e32 v37, 0x3f763a35, v33
	v_fma_f32 v38, v31, s7, -v37
	v_fmac_f32_e32 v37, 0xbe8c1d8e, v31
	v_add_f32_e32 v14, v37, v14
	v_mul_f32_e32 v37, 0xbeb8f4ab, v33
	v_add_f32_e32 v16, v38, v16
	v_fma_f32 v38, v31, s15, -v37
	v_fmac_f32_e32 v37, 0x3f6eb680, v31
	v_add_f32_e32 v18, v37, v18
	v_mul_f32_e32 v37, 0xbf06c442, v33
	v_add_f32_e32 v20, v38, v20
	;; [unrolled: 5-line block ×5, first 2 shown]
	v_fma_f32 v38, v31, s14, -v37
	v_fmac_f32_e32 v37, 0xbf7ba420, v31
	v_mul_f32_e32 v33, 0x3f65296c, v33
	v_add_f32_e32 v34, v37, v34
	v_mov_b32_e32 v37, v33
	v_mul_f32_e32 v78, 0xbf59a7d5, v29
	v_fmac_f32_e32 v37, 0x3ee437d1, v31
	v_fma_f32 v31, v31, s1, -v33
	v_add_f32_e32 v8, v31, v8
	v_add_f32_e32 v31, v78, v35
	;; [unrolled: 1-line block ×3, first 2 shown]
	v_mul_f32_e32 v31, 0x3f65296c, v25
	v_fma_f32 v33, v29, s1, -v31
	v_fmac_f32_e32 v31, 0x3ee437d1, v29
	v_add_f32_e32 v14, v31, v14
	v_mul_f32_e32 v31, 0xbf7ee86f, v25
	v_add_f32_e32 v16, v33, v16
	v_fma_f32 v33, v29, s0, -v31
	v_fmac_f32_e32 v31, 0x3dbcf732, v29
	v_add_f32_e32 v18, v31, v18
	v_mul_f32_e32 v31, 0x3f4c4adb, v25
	v_add_f32_e32 v20, v33, v20
	;; [unrolled: 5-line block ×4, first 2 shown]
	v_fma_f32 v33, v29, s14, -v31
	v_fmac_f32_e32 v31, 0xbf7ba420, v29
	v_add_f32_e32 v30, v31, v30
	v_add_f32_e32 v31, v33, v32
	v_mul_f32_e32 v32, 0x3f2c7751, v25
	v_fma_f32 v33, v29, s6, -v32
	v_fmac_f32_e32 v32, 0x3f3d2fb0, v29
	v_mul_f32_e32 v25, 0xbf763a35, v25
	v_mul_f32_e32 v79, 0xbf7ba420, v7
	v_add_f32_e32 v32, v32, v34
	v_mov_b32_e32 v34, v25
	v_fma_f32 v25, v29, s7, -v25
	v_add_f32_e32 v8, v25, v8
	v_add_f32_e32 v25, v79, v27
	v_add_f32_e32 v12, v25, v12
	v_mul_f32_e32 v25, 0x3eb8f4ab, v23
	v_fma_f32 v27, v7, s15, -v25
	v_fmac_f32_e32 v25, 0x3f6eb680, v7
	v_add_f32_e32 v14, v25, v14
	v_mul_f32_e32 v25, 0xbf06c442, v23
	v_add_f32_e32 v16, v27, v16
	v_fma_f32 v27, v7, s9, -v25
	v_fmac_f32_e32 v25, 0xbf59a7d5, v7
	v_add_f32_e32 v18, v25, v18
	v_mul_f32_e32 v25, 0x3f2c7751, v23
	v_add_f32_e32 v20, v27, v20
	;; [unrolled: 5-line block ×3, first 2 shown]
	v_add_f32_e32 v40, v67, v40
	v_add_f32_e32 v24, v27, v24
	v_fma_f32 v27, v7, s8, -v25
	v_fmac_f32_e32 v25, 0xbf1a4643, v7
	v_add_f32_e32 v36, v65, v36
	v_add_f32_e32 v40, v62, v40
	;; [unrolled: 1-line block ×4, first 2 shown]
	v_mul_f32_e32 v27, 0x3f65296c, v23
	v_add_f32_e32 v36, v61, v36
	v_add_f32_e32 v40, v59, v40
	v_fmac_f32_e32 v34, 0xbe8c1d8e, v29
	v_fma_f32 v28, v7, s1, -v27
	v_mul_f32_e32 v29, 0xbf763a35, v23
	v_mul_f32_e32 v23, 0x3f7ee86f, v23
	v_add_f32_e32 v36, v58, v36
	v_add_f32_e32 v39, v39, v40
	v_fmac_f32_e32 v27, 0x3ee437d1, v7
	v_add_f32_e32 v28, v28, v31
	v_mov_b32_e32 v31, v23
	v_add_f32_e32 v36, v38, v36
	v_add_f32_e32 v37, v37, v39
	;; [unrolled: 1-line block ×3, first 2 shown]
	v_fma_f32 v30, v7, s7, -v29
	v_fmac_f32_e32 v29, 0xbe8c1d8e, v7
	v_fmac_f32_e32 v31, 0x3dbcf732, v7
	v_fma_f32 v7, v7, s0, -v23
	v_add_f32_e32 v33, v33, v36
	v_add_f32_e32 v34, v34, v37
	;; [unrolled: 1-line block ×3, first 2 shown]
	v_lshl_add_u32 v8, v3, 6, v0
	v_add_f32_e32 v29, v29, v32
	v_add_f32_e32 v30, v30, v33
	;; [unrolled: 1-line block ×3, first 2 shown]
	ds_write2_b32 v8, v10, v12 offset1:1
	ds_write2_b32 v8, v14, v18 offset0:2 offset1:3
	ds_write2_b32 v8, v22, v25 offset0:4 offset1:5
	;; [unrolled: 1-line block ×7, first 2 shown]
	ds_write_b32 v8, v63 offset:64
.LBB0_15:
	s_or_b64 exec, exec, s[2:3]
	s_movk_i32 s0, 0xf1
	v_mul_lo_u16_sdwa v14, v3, s0 dst_sel:DWORD dst_unused:UNUSED_PAD src0_sel:BYTE_0 src1_sel:DWORD
	v_add_u16_e32 v64, 0x77, v3
	v_add_u32_e32 v62, 0xee, v3
	v_lshrrev_b16_e32 v16, 12, v14
	v_mul_lo_u16_sdwa v40, v64, s0 dst_sel:DWORD dst_unused:UNUSED_PAD src0_sel:BYTE_0 src1_sel:DWORD
	s_mov_b32 s0, 0xf0f1
	v_add_u32_e32 v61, 0x165, v3
	v_mul_lo_u16_e32 v7, 17, v16
	v_lshrrev_b16_e32 v73, 12, v40
	v_mul_u32_u24_sdwa v75, v62, s0 dst_sel:DWORD dst_unused:UNUSED_PAD src0_sel:WORD_0 src1_sel:DWORD
	v_sub_u16_e32 v18, v3, v7
	v_mul_lo_u16_e32 v7, 17, v73
	v_lshrrev_b32_e32 v76, 20, v75
	v_mul_u32_u24_sdwa v78, v61, s0 dst_sel:DWORD dst_unused:UNUSED_PAD src0_sel:WORD_0 src1_sel:DWORD
	v_add_u32_e32 v10, 0x1dc, v3
	v_sub_u16_e32 v74, v64, v7
	v_mul_lo_u16_e32 v7, 17, v76
	v_lshrrev_b32_e32 v79, 20, v78
	v_add_u32_e32 v12, 0x253, v3
	v_mov_b32_e32 v20, 3
	v_sub_u16_e32 v77, v62, v7
	v_mul_lo_u16_e32 v7, 17, v79
	v_mul_u32_u24_sdwa v81, v10, s0 dst_sel:DWORD dst_unused:UNUSED_PAD src0_sel:WORD_0 src1_sel:DWORD
	v_lshlrev_b32_sdwa v28, v20, v18 dst_sel:DWORD dst_unused:UNUSED_PAD src0_sel:DWORD src1_sel:BYTE_0
	v_sub_u16_e32 v80, v61, v7
	v_lshrrev_b32_e32 v82, 20, v81
	v_add_u32_e32 v84, 0x2ca, v3
	v_mul_u32_u24_sdwa v86, v12, s0 dst_sel:DWORD dst_unused:UNUSED_PAD src0_sel:WORD_0 src1_sel:DWORD
	s_load_dwordx2 s[4:5], s[4:5], 0x0
	s_waitcnt lgkmcnt(0)
	s_barrier
	v_lshlrev_b32_sdwa v29, v20, v74 dst_sel:DWORD dst_unused:UNUSED_PAD src0_sel:DWORD src1_sel:BYTE_0
	v_lshlrev_b32_e32 v30, 3, v77
	v_lshlrev_b32_e32 v31, 3, v80
	global_load_dwordx2 v[7:8], v28, s[12:13]
	global_load_dwordx2 v[22:23], v29, s[12:13]
	;; [unrolled: 1-line block ×4, first 2 shown]
	v_mul_lo_u16_e32 v28, 17, v82
	v_add_u32_e32 v85, 0x341, v3
	v_lshrrev_b32_e32 v87, 20, v86
	v_mul_u32_u24_sdwa v89, v84, s0 dst_sel:DWORD dst_unused:UNUSED_PAD src0_sel:WORD_0 src1_sel:DWORD
	v_sub_u16_e32 v83, v10, v28
	v_mul_lo_u16_e32 v30, 17, v87
	v_lshrrev_b32_e32 v90, 20, v89
	v_mul_u32_u24_sdwa v92, v85, s0 dst_sel:DWORD dst_unused:UNUSED_PAD src0_sel:WORD_0 src1_sel:DWORD
	v_lshlrev_b32_e32 v28, 3, v83
	v_sub_u16_e32 v88, v12, v30
	v_mul_lo_u16_e32 v31, 17, v90
	v_lshrrev_b32_e32 v93, 20, v92
	global_load_dwordx2 v[28:29], v28, s[12:13]
	v_lshlrev_b32_e32 v30, 3, v88
	v_sub_u16_e32 v91, v84, v31
	global_load_dwordx2 v[30:31], v30, s[12:13]
	v_mul_lo_u16_e32 v34, 17, v93
	v_lshlrev_b32_e32 v32, 3, v91
	global_load_dwordx2 v[32:33], v32, s[12:13]
	v_sub_u16_e32 v94, v85, v34
	v_lshlrev_b32_e32 v34, 3, v94
	global_load_dwordx2 v[34:35], v34, s[12:13]
	ds_read2_b32 v[36:37], v0 offset1:119
	ds_read2_b32 v[38:39], v9 offset0:56 offset1:175
	ds_read2_b32 v[57:58], v13 offset0:110 offset1:229
	;; [unrolled: 1-line block ×7, first 2 shown]
	v_mul_u32_u24_e32 v16, 0x88, v16
	s_waitcnt vmcnt(0) lgkmcnt(0)
	s_barrier
	v_lshrrev_b16_e32 v14, 13, v14
	v_cmp_gt_u32_e64 s[0:1], 34, v3
	v_mul_f32_e32 v95, v38, v8
	v_mul_f32_e32 v8, v53, v8
	;; [unrolled: 1-line block ×8, first 2 shown]
	v_fma_f32 v53, v53, v7, -v95
	v_fmac_f32_e32 v8, v38, v7
	v_fma_f32 v7, v54, v22, -v96
	v_fmac_f32_e32 v23, v39, v22
	;; [unrolled: 2-line block ×4, first 2 shown]
	v_mul_f32_e32 v99, v67, v29
	v_mul_f32_e32 v29, v51, v29
	v_fma_f32 v26, v51, v28, -v99
	v_fmac_f32_e32 v29, v67, v28
	v_mul_f32_e32 v28, v68, v31
	v_mul_f32_e32 v31, v52, v31
	v_fma_f32 v28, v52, v30, -v28
	v_fmac_f32_e32 v31, v68, v30
	;; [unrolled: 4-line block ×3, first 2 shown]
	v_mul_f32_e32 v32, v72, v35
	v_mul_f32_e32 v35, v50, v35
	v_mov_b32_e32 v95, 2
	v_fma_f32 v32, v50, v34, -v32
	v_fmac_f32_e32 v35, v72, v34
	v_sub_f32_e32 v34, v47, v53
	v_lshlrev_b32_sdwa v18, v95, v18 dst_sel:DWORD dst_unused:UNUSED_PAD src0_sel:DWORD src1_sel:BYTE_0
	v_sub_f32_e32 v38, v36, v8
	v_fma_f32 v8, v47, 2.0, -v34
	v_add3_u32 v16, 0, v16, v18
	v_sub_f32_e32 v7, v48, v7
	ds_write2_b32 v16, v8, v34 offset1:17
	v_mul_u32_u24_e32 v8, 0x88, v73
	v_lshlrev_b32_sdwa v18, v95, v74 dst_sel:DWORD dst_unused:UNUSED_PAD src0_sel:DWORD src1_sel:BYTE_0
	v_sub_f32_e32 v39, v37, v23
	v_fma_f32 v23, v48, 2.0, -v7
	v_add3_u32 v18, 0, v8, v18
	v_sub_f32_e32 v22, v45, v22
	ds_write2_b32 v18, v23, v7 offset1:17
	v_mul_u32_u24_e32 v7, 0x88, v76
	v_lshlrev_b32_e32 v8, 2, v77
	v_sub_f32_e32 v47, v57, v25
	v_fma_f32 v25, v45, 2.0, -v22
	v_add3_u32 v34, 0, v7, v8
	v_mul_u32_u24_e32 v7, 0x88, v79
	v_lshlrev_b32_e32 v8, 2, v80
	v_sub_f32_e32 v24, v46, v24
	v_sub_f32_e32 v26, v43, v26
	ds_write2_b32 v34, v25, v22 offset1:17
	v_add3_u32 v22, 0, v7, v8
	v_mul_u32_u24_e32 v7, 0x88, v82
	v_lshlrev_b32_e32 v8, 2, v83
	v_sub_f32_e32 v48, v58, v27
	v_fma_f32 v27, v46, 2.0, -v24
	v_fma_f32 v43, v43, 2.0, -v26
	v_sub_f32_e32 v28, v44, v28
	v_add3_u32 v53, 0, v7, v8
	v_mul_u32_u24_e32 v7, 0x88, v87
	v_lshlrev_b32_e32 v8, 2, v88
	v_fma_f32 v44, v44, 2.0, -v28
	v_sub_f32_e32 v30, v41, v30
	ds_write2_b32 v22, v27, v24 offset1:17
	ds_write2_b32 v53, v43, v26 offset1:17
	v_add3_u32 v43, 0, v7, v8
	v_mul_u32_u24_e32 v7, 0x88, v90
	v_lshlrev_b32_e32 v8, 2, v91
	v_fma_f32 v41, v41, 2.0, -v30
	v_sub_f32_e32 v32, v42, v32
	ds_write2_b32 v43, v44, v28 offset1:17
	v_add3_u32 v44, 0, v7, v8
	v_mul_u32_u24_e32 v7, 0x88, v93
	v_lshlrev_b32_e32 v8, 2, v94
	v_fma_f32 v36, v36, 2.0, -v38
	v_sub_f32_e32 v29, v65, v29
	v_sub_f32_e32 v31, v66, v31
	;; [unrolled: 1-line block ×4, first 2 shown]
	v_fma_f32 v42, v42, 2.0, -v32
	ds_write2_b32 v44, v41, v30 offset1:17
	v_add3_u32 v30, 0, v7, v8
	v_fma_f32 v37, v37, 2.0, -v39
	v_fma_f32 v45, v57, 2.0, -v47
	;; [unrolled: 1-line block ×7, first 2 shown]
	ds_write2_b32 v30, v42, v32 offset1:17
	s_waitcnt lgkmcnt(0)
	s_barrier
	ds_read2_b32 v[65:66], v0 offset1:119
	ds_read2_b32 v[27:28], v9 offset0:56 offset1:175
	ds_read2_b32 v[67:68], v13 offset0:110 offset1:229
	;; [unrolled: 1-line block ×7, first 2 shown]
	s_waitcnt lgkmcnt(0)
	s_barrier
	ds_write2_b32 v16, v36, v38 offset1:17
	ds_write2_b32 v18, v37, v39 offset1:17
	;; [unrolled: 1-line block ×8, first 2 shown]
	v_lshrrev_b16_e32 v22, 13, v40
	v_mul_lo_u16_e32 v29, 34, v22
	v_lshrrev_b32_e32 v74, 21, v75
	v_mul_lo_u16_e32 v16, 34, v14
	v_sub_u16_e32 v73, v64, v29
	v_mul_lo_u16_e32 v29, 34, v74
	v_lshrrev_b32_e32 v76, 21, v78
	v_sub_u16_e32 v16, v3, v16
	v_sub_u16_e32 v75, v62, v29
	v_mul_lo_u16_e32 v29, 34, v76
	v_lshlrev_b32_sdwa v18, v20, v16 dst_sel:DWORD dst_unused:UNUSED_PAD src0_sel:DWORD src1_sel:BYTE_0
	v_sub_u16_e32 v77, v61, v29
	s_waitcnt lgkmcnt(0)
	s_barrier
	v_lshlrev_b32_sdwa v20, v20, v73 dst_sel:DWORD dst_unused:UNUSED_PAD src0_sel:DWORD src1_sel:BYTE_0
	v_lshlrev_b32_e32 v37, 3, v75
	v_lshlrev_b32_e32 v38, 3, v77
	global_load_dwordx2 v[35:36], v18, s[12:13] offset:136
	global_load_dwordx2 v[33:34], v20, s[12:13] offset:136
	;; [unrolled: 1-line block ×4, first 2 shown]
	v_lshrrev_b32_e32 v18, 21, v81
	v_lshrrev_b32_e32 v78, 21, v86
	;; [unrolled: 1-line block ×3, first 2 shown]
	v_mul_lo_u16_e32 v20, 34, v18
	v_mul_lo_u16_e32 v37, 34, v78
	;; [unrolled: 1-line block ×3, first 2 shown]
	v_sub_u16_e32 v10, v10, v20
	v_sub_u16_e32 v12, v12, v37
	v_sub_u16_e32 v80, v84, v38
	v_lshlrev_b32_e32 v20, 3, v10
	v_lshlrev_b32_e32 v37, 3, v12
	;; [unrolled: 1-line block ×3, first 2 shown]
	v_lshrrev_b32_e32 v81, 21, v92
	global_load_dwordx2 v[51:52], v20, s[12:13] offset:136
	global_load_dwordx2 v[49:50], v37, s[12:13] offset:136
	;; [unrolled: 1-line block ×3, first 2 shown]
	v_mul_lo_u16_e32 v20, 34, v81
	v_sub_u16_e32 v20, v85, v20
	v_lshlrev_b32_e32 v37, 3, v20
	global_load_dwordx2 v[45:46], v37, s[12:13] offset:136
	ds_read2_b32 v[43:44], v0 offset1:119
	ds_read2_b32 v[59:60], v9 offset0:56 offset1:175
	ds_read2_b32 v[41:42], v13 offset0:110 offset1:229
	;; [unrolled: 1-line block ×7, first 2 shown]
	v_mul_u32_u24_e32 v14, 0x110, v14
	v_lshlrev_b32_sdwa v16, v95, v16 dst_sel:DWORD dst_unused:UNUSED_PAD src0_sel:DWORD src1_sel:BYTE_0
	s_waitcnt vmcnt(0) lgkmcnt(0)
	s_barrier
	v_lshlrev_b32_e32 v10, 2, v10
	v_mul_f32_e32 v9, v59, v36
	v_fma_f32 v9, v27, v35, -v9
	v_mul_f32_e32 v13, v60, v34
	v_fma_f32 v13, v28, v33, -v13
	v_sub_f32_e32 v9, v65, v9
	v_fma_f32 v84, v65, 2.0, -v9
	v_sub_f32_e32 v13, v66, v13
	v_fma_f32 v85, v66, 2.0, -v13
	v_mul_f32_e32 v15, v57, v32
	v_mul_f32_e32 v17, v58, v30
	v_fma_f32 v15, v25, v31, -v15
	v_fma_f32 v17, v26, v29, -v17
	v_sub_f32_e32 v15, v67, v15
	v_sub_f32_e32 v17, v68, v17
	v_fma_f32 v67, v67, 2.0, -v15
	v_fma_f32 v68, v68, 2.0, -v17
	v_mul_f32_e32 v19, v55, v52
	v_mul_f32_e32 v21, v56, v50
	v_mul_f32_e32 v82, v53, v48
	v_fma_f32 v82, v7, v47, -v82
	v_sub_f32_e32 v82, v71, v82
	v_fma_f32 v86, v71, 2.0, -v82
	v_mul_f32_e32 v83, v54, v46
	v_fma_f32 v83, v8, v45, -v83
	v_add3_u32 v71, 0, v14, v16
	v_sub_f32_e32 v66, v72, v83
	ds_write2_b32 v71, v84, v9 offset1:34
	v_mul_u32_u24_e32 v9, 0x110, v22
	v_lshlrev_b32_sdwa v14, v95, v73 dst_sel:DWORD dst_unused:UNUSED_PAD src0_sel:DWORD src1_sel:BYTE_0
	v_fma_f32 v65, v72, 2.0, -v66
	v_add3_u32 v72, 0, v9, v14
	ds_write2_b32 v72, v85, v13 offset1:34
	v_mul_u32_u24_e32 v9, 0x110, v74
	v_lshlrev_b32_e32 v13, 2, v75
	v_add3_u32 v73, 0, v9, v13
	v_mul_u32_u24_e32 v9, 0x110, v76
	v_lshlrev_b32_e32 v13, 2, v77
	v_add3_u32 v74, 0, v9, v13
	v_mul_u32_u24_e32 v9, 0x110, v18
	v_fma_f32 v19, v23, v51, -v19
	v_fma_f32 v21, v24, v49, -v21
	v_add3_u32 v75, 0, v9, v10
	v_mul_u32_u24_e32 v9, 0x110, v78
	v_lshlrev_b32_e32 v10, 2, v12
	v_sub_f32_e32 v19, v69, v19
	v_sub_f32_e32 v21, v70, v21
	v_add3_u32 v76, 0, v9, v10
	v_mul_u32_u24_e32 v9, 0x110, v79
	v_lshlrev_b32_e32 v10, 2, v80
	v_fma_f32 v69, v69, 2.0, -v19
	v_fma_f32 v70, v70, 2.0, -v21
	v_add3_u32 v77, 0, v9, v10
	v_mul_u32_u24_e32 v9, 0x110, v81
	v_lshlrev_b32_e32 v10, 2, v20
	ds_write2_b32 v73, v67, v15 offset1:34
	ds_write2_b32 v74, v68, v17 offset1:34
	;; [unrolled: 1-line block ×5, first 2 shown]
	v_add3_u32 v78, 0, v9, v10
	v_add_u32_e32 v79, 0x400, v0
	v_add_u32_e32 v80, 0x800, v0
	;; [unrolled: 1-line block ×5, first 2 shown]
	ds_write2_b32 v78, v65, v66 offset1:34
	s_waitcnt lgkmcnt(0)
	s_barrier
	ds_read2_b32 v[9:10], v0 offset1:119
	ds_read2_b32 v[13:14], v79 offset0:16 offset1:135
	ds_read2_b32 v[15:16], v80 offset0:32 offset1:151
	;; [unrolled: 1-line block ×6, first 2 shown]
                                        ; implicit-def: $vgpr69
                                        ; implicit-def: $vgpr67
                                        ; implicit-def: $vgpr68
                                        ; implicit-def: $vgpr70
	s_and_saveexec_b64 s[2:3], s[0:1]
	s_cbranch_execz .LBB0_17
; %bb.16:
	ds_read_b32 v65, v0 offset:952
	ds_read_b32 v66, v0 offset:2040
	;; [unrolled: 1-line block ×7, first 2 shown]
.LBB0_17:
	s_or_b64 exec, exec, s[2:3]
	v_mul_f32_e32 v27, v27, v36
	v_mul_f32_e32 v28, v28, v34
	;; [unrolled: 1-line block ×6, first 2 shown]
	v_fmac_f32_e32 v27, v59, v35
	v_fmac_f32_e32 v28, v60, v33
	;; [unrolled: 1-line block ×6, first 2 shown]
	v_mul_f32_e32 v7, v7, v48
	v_mul_f32_e32 v8, v8, v46
	v_fmac_f32_e32 v7, v53, v47
	v_fmac_f32_e32 v8, v54, v45
	v_sub_f32_e32 v27, v43, v27
	v_sub_f32_e32 v28, v44, v28
	v_sub_f32_e32 v25, v41, v25
	v_sub_f32_e32 v26, v42, v26
	v_sub_f32_e32 v23, v39, v23
	v_sub_f32_e32 v24, v40, v24
	v_fma_f32 v29, v43, 2.0, -v27
	v_fma_f32 v30, v44, 2.0, -v28
	;; [unrolled: 1-line block ×6, first 2 shown]
	v_sub_f32_e32 v7, v37, v7
	v_sub_f32_e32 v48, v38, v8
	v_fma_f32 v36, v37, 2.0, -v7
	v_fma_f32 v35, v38, 2.0, -v48
	s_waitcnt lgkmcnt(0)
	s_barrier
	ds_write2_b32 v71, v29, v27 offset1:34
	ds_write2_b32 v72, v30, v28 offset1:34
	;; [unrolled: 1-line block ×8, first 2 shown]
	s_waitcnt lgkmcnt(0)
	s_barrier
	ds_read2_b32 v[7:8], v0 offset1:119
	ds_read2_b32 v[33:34], v79 offset0:16 offset1:135
	ds_read2_b32 v[31:32], v80 offset0:32 offset1:151
	;; [unrolled: 1-line block ×5, first 2 shown]
	v_add_u32_e32 v25, 0x1800, v0
	ds_read2_b32 v[25:26], v25 offset0:96 offset1:215
                                        ; implicit-def: $vgpr51
                                        ; implicit-def: $vgpr49
                                        ; implicit-def: $vgpr50
                                        ; implicit-def: $vgpr52
	s_and_saveexec_b64 s[2:3], s[0:1]
	s_cbranch_execz .LBB0_19
; %bb.18:
	ds_read_b32 v35, v0 offset:952
	ds_read_b32 v48, v0 offset:2040
	ds_read_b32 v63, v0 offset:3128
	ds_read_b32 v52, v0 offset:4216
	ds_read_b32 v51, v0 offset:5304
	ds_read_b32 v50, v0 offset:6392
	ds_read_b32 v49, v0 offset:7480
.LBB0_19:
	s_or_b64 exec, exec, s[2:3]
	s_movk_i32 s2, 0x44
	v_add_u32_e32 v36, 0xffffffbc, v3
	v_cmp_gt_u32_e64 s[2:3], s2, v3
	v_cndmask_b32_e64 v95, v36, v3, s[2:3]
	v_mul_i32_i24_e32 v36, 6, v95
	v_mov_b32_e32 v37, 0
	v_lshlrev_b64 v[36:37], 3, v[36:37]
	v_mov_b32_e32 v38, s13
	v_add_co_u32_e64 v36, s[2:3], s12, v36
	v_addc_co_u32_e64 v37, s[2:3], v38, v37, s[2:3]
	s_movk_i32 s2, 0x79
	global_load_dwordx4 v[43:46], v[36:37], off offset:408
	global_load_dwordx4 v[53:56], v[36:37], off offset:424
	;; [unrolled: 1-line block ×3, first 2 shown]
	v_mul_lo_u16_sdwa v37, v64, s2 dst_sel:DWORD dst_unused:UNUSED_PAD src0_sel:BYTE_0 src1_sel:DWORD
	v_lshrrev_b16_e32 v96, 13, v37
	v_mul_lo_u16_e32 v37, 0x44, v96
	v_mov_b32_e32 v36, 6
	v_sub_u16_e32 v64, v64, v37
	v_mul_u32_u24_sdwa v36, v64, v36 dst_sel:DWORD dst_unused:UNUSED_PAD src0_sel:BYTE_0 src1_sel:DWORD
	v_lshlrev_b32_e32 v36, 3, v36
	s_mov_b32 s2, 0xf0f1
	global_load_dwordx4 v[71:74], v36, s[12:13] offset:408
	global_load_dwordx4 v[75:78], v36, s[12:13] offset:440
	;; [unrolled: 1-line block ×3, first 2 shown]
	v_mul_u32_u24_sdwa v36, v62, s2 dst_sel:DWORD dst_unused:UNUSED_PAD src0_sel:WORD_0 src1_sel:DWORD
	v_lshrrev_b32_e32 v36, 22, v36
	v_mul_lo_u16_e32 v36, 0x44, v36
	v_sub_u16_e32 v97, v62, v36
	v_mul_u32_u24_e32 v36, 6, v97
	v_lshlrev_b32_e32 v36, 3, v36
	global_load_dwordx4 v[83:86], v36, s[12:13] offset:408
	global_load_dwordx4 v[87:90], v36, s[12:13] offset:424
	;; [unrolled: 1-line block ×3, first 2 shown]
	s_mov_b32 s6, 0x3f5ff5aa
	s_mov_b32 s7, 0x3f3bfb3b
	;; [unrolled: 1-line block ×4, first 2 shown]
	s_movk_i32 s2, 0x43
	v_cmp_lt_u32_e64 s[2:3], s2, v3
	s_waitcnt vmcnt(0) lgkmcnt(0)
	s_barrier
	v_mul_f32_e32 v36, v13, v44
	v_mul_f32_e32 v41, v33, v44
	;; [unrolled: 1-line block ×10, first 2 shown]
	v_fmac_f32_e32 v36, v33, v43
	v_mul_f32_e32 v33, v24, v76
	v_mul_f32_e32 v44, v11, v60
	v_fma_f32 v41, v13, v43, -v41
	v_fma_f32 v42, v15, v45, -v42
	v_fmac_f32_e32 v37, v31, v45
	v_fma_f32 v43, v17, v53, -v46
	v_fmac_f32_e32 v38, v29, v53
	v_fma_f32 v45, v19, v55, -v47
	v_fma_f32 v46, v21, v57, -v54
	;; [unrolled: 1-line block ×3, first 2 shown]
	v_mul_f32_e32 v11, v14, v72
	v_mul_f32_e32 v13, v16, v74
	;; [unrolled: 1-line block ×4, first 2 shown]
	v_fma_f32 v22, v22, v75, -v33
	v_mul_f32_e32 v33, v67, v94
	v_mul_f32_e32 v40, v21, v58
	v_fmac_f32_e32 v39, v27, v55
	v_fmac_f32_e32 v44, v25, v59
	v_mul_f32_e32 v25, v34, v72
	v_mul_f32_e32 v27, v32, v74
	;; [unrolled: 1-line block ×6, first 2 shown]
	v_fmac_f32_e32 v11, v34, v71
	v_fmac_f32_e32 v13, v32, v73
	v_fma_f32 v18, v18, v79, -v29
	v_mul_f32_e32 v29, v69, v90
	v_mul_f32_e32 v32, v49, v94
	v_fmac_f32_e32 v33, v49, v93
	v_add_f32_e32 v34, v41, v47
	v_add_f32_e32 v49, v42, v46
	v_fmac_f32_e32 v40, v23, v57
	v_mul_f32_e32 v21, v12, v78
	v_mul_f32_e32 v54, v48, v84
	;; [unrolled: 1-line block ×3, first 2 shown]
	v_fma_f32 v16, v16, v73, -v27
	v_fma_f32 v20, v20, v81, -v31
	v_fmac_f32_e32 v17, v28, v81
	v_fma_f32 v12, v12, v77, -v53
	v_mul_f32_e32 v27, v70, v88
	v_mul_f32_e32 v28, v51, v90
	v_fmac_f32_e32 v29, v51, v89
	v_mul_f32_e32 v31, v68, v92
	v_add_f32_e32 v51, v43, v45
	v_add_f32_e32 v53, v49, v34
	v_mul_f32_e32 v55, v63, v86
	v_fmac_f32_e32 v15, v30, v79
	v_fmac_f32_e32 v19, v24, v75
	;; [unrolled: 1-line block ×3, first 2 shown]
	v_fma_f32 v24, v66, v83, -v54
	v_fmac_f32_e32 v23, v48, v83
	v_mul_f32_e32 v26, v52, v88
	v_fmac_f32_e32 v27, v52, v87
	v_mul_f32_e32 v30, v50, v92
	v_fmac_f32_e32 v31, v50, v91
	v_sub_f32_e32 v48, v36, v44
	v_sub_f32_e32 v50, v37, v40
	;; [unrolled: 1-line block ×6, first 2 shown]
	v_add_f32_e32 v51, v51, v53
	v_fma_f32 v14, v14, v71, -v25
	v_fma_f32 v25, v4, v85, -v55
	v_add_f32_e32 v55, v52, v50
	v_sub_f32_e32 v56, v52, v50
	v_sub_f32_e32 v50, v50, v48
	v_add_f32_e32 v9, v9, v51
	v_sub_f32_e32 v52, v48, v52
	v_add_f32_e32 v48, v55, v48
	v_mul_f32_e32 v34, 0x3f4a47b2, v34
	v_mul_f32_e32 v53, 0x3d64c772, v49
	;; [unrolled: 1-line block ×4, first 2 shown]
	v_mov_b32_e32 v57, v9
	v_fmac_f32_e32 v57, 0xbf955555, v51
	v_fma_f32 v51, v54, s7, -v53
	v_fma_f32 v53, v54, s8, -v34
	v_fmac_f32_e32 v34, 0x3d64c772, v49
	v_fma_f32 v49, v50, s6, -v55
	v_fma_f32 v50, v52, s9, -v56
	v_fmac_f32_e32 v55, 0x3eae86e6, v52
	v_add_f32_e32 v52, v53, v57
	v_fmac_f32_e32 v50, 0x3ee1c552, v48
	v_fmac_f32_e32 v55, 0x3ee1c552, v48
	;; [unrolled: 1-line block ×3, first 2 shown]
	v_add_f32_e32 v54, v50, v52
	v_sub_f32_e32 v50, v52, v50
	v_add_f32_e32 v48, v14, v12
	v_add_f32_e32 v52, v16, v22
	;; [unrolled: 1-line block ×6, first 2 shown]
	v_mul_f32_e32 v4, v4, v86
	v_add_f32_e32 v53, v55, v34
	v_sub_f32_e32 v34, v34, v55
	v_sub_f32_e32 v55, v13, v19
	;; [unrolled: 1-line block ×6, first 2 shown]
	v_add_f32_e32 v57, v57, v59
	v_fmac_f32_e32 v4, v63, v85
	v_sub_f32_e32 v56, v51, v49
	v_add_f32_e32 v51, v49, v51
	v_sub_f32_e32 v49, v11, v21
	v_add_f32_e32 v63, v58, v55
	;; [unrolled: 2-line block ×3, first 2 shown]
	v_fma_f32 v32, v67, v93, -v32
	v_sub_f32_e32 v58, v49, v58
	v_sub_f32_e32 v55, v55, v49
	v_add_f32_e32 v49, v63, v49
	v_mul_f32_e32 v48, 0x3f4a47b2, v48
	v_mul_f32_e32 v59, 0x3d64c772, v52
	v_mul_f32_e32 v63, 0xbf08b237, v66
	v_mov_b32_e32 v67, v10
	v_fmac_f32_e32 v67, 0xbf955555, v57
	v_fma_f32 v57, v60, s7, -v59
	v_fma_f32 v59, v60, s8, -v48
	v_fmac_f32_e32 v48, 0x3d64c772, v52
	v_fma_f32 v52, v55, s6, -v63
	v_fmac_f32_e32 v63, 0x3eae86e6, v58
	v_mul_f32_e32 v66, 0x3f5ff5aa, v55
	v_add_f32_e32 v48, v48, v67
	v_add_f32_e32 v57, v57, v67
	v_fmac_f32_e32 v63, 0x3ee1c552, v49
	v_fmac_f32_e32 v52, 0x3ee1c552, v49
	v_fma_f32 v55, v58, s9, -v66
	v_add_f32_e32 v58, v59, v67
	v_add_f32_e32 v59, v63, v48
	v_sub_f32_e32 v66, v57, v52
	v_add_f32_e32 v52, v52, v57
	v_sub_f32_e32 v57, v48, v63
	v_mov_b32_e32 v48, 0x770
	v_fmac_f32_e32 v55, 0x3ee1c552, v49
	v_cndmask_b32_e64 v48, 0, v48, s[2:3]
	v_lshlrev_b32_e32 v49, 2, v95
	v_add3_u32 v48, 0, v48, v49
	v_add_u32_e32 v49, 0x400, v48
	ds_write2_b32 v48, v9, v53 offset1:68
	ds_write2_b32 v48, v54, v56 offset0:136 offset1:204
	ds_write2_b32 v49, v51, v50 offset0:16 offset1:84
	ds_write_b32 v48, v34 offset:1632
	v_mov_b32_e32 v34, 2
	v_mul_u32_u24_e32 v9, 0x770, v96
	v_lshlrev_b32_sdwa v34, v34, v64 dst_sel:DWORD dst_unused:UNUSED_PAD src0_sel:DWORD src1_sel:BYTE_0
	v_add3_u32 v50, 0, v9, v34
	v_fma_f32 v26, v70, v87, -v26
	v_fma_f32 v28, v69, v89, -v28
	;; [unrolled: 1-line block ×3, first 2 shown]
	v_add_f32_e32 v60, v55, v58
	v_sub_f32_e32 v55, v58, v55
	v_add_u32_e32 v51, 0x400, v50
	v_lshl_add_u32 v34, v97, 2, 0
	ds_write2_b32 v50, v10, v59 offset1:68
	ds_write2_b32 v50, v60, v66 offset0:136 offset1:204
	ds_write2_b32 v51, v52, v55 offset0:16 offset1:84
	ds_write_b32 v50, v57 offset:1632
	s_and_saveexec_b64 s[2:3], s[0:1]
	s_cbranch_execz .LBB0_21
; %bb.20:
	v_add_f32_e32 v9, v24, v32
	v_add_f32_e32 v10, v26, v28
	v_sub_f32_e32 v52, v9, v10
	v_mul_f32_e32 v52, 0x3f4a47b2, v52
	v_add_f32_e32 v53, v25, v30
	v_sub_f32_e32 v54, v10, v53
	v_mov_b32_e32 v56, v52
	v_mul_f32_e32 v55, 0x3d64c772, v54
	v_fmac_f32_e32 v56, 0x3d64c772, v54
	v_add_f32_e32 v54, v53, v9
	v_add_f32_e32 v10, v10, v54
	;; [unrolled: 1-line block ×3, first 2 shown]
	v_mov_b32_e32 v57, v54
	v_sub_f32_e32 v58, v29, v27
	v_sub_f32_e32 v60, v4, v31
	v_fmac_f32_e32 v57, 0xbf955555, v10
	v_sub_f32_e32 v63, v58, v60
	v_add_f32_e32 v10, v56, v57
	v_sub_f32_e32 v56, v23, v33
	v_mul_f32_e32 v63, 0xbf08b237, v63
	v_sub_f32_e32 v59, v56, v58
	v_mov_b32_e32 v64, v63
	v_add_f32_e32 v58, v58, v60
	v_sub_f32_e32 v9, v53, v9
	v_sub_f32_e32 v53, v60, v56
	v_fmac_f32_e32 v64, 0x3eae86e6, v59
	v_add_f32_e32 v58, v58, v56
	v_fma_f32 v52, v9, s8, -v52
	v_mul_f32_e32 v56, 0x3f5ff5aa, v53
	v_fma_f32 v53, v53, s6, -v63
	v_fma_f32 v9, v9, s7, -v55
	v_fmac_f32_e32 v64, 0x3ee1c552, v58
	v_fma_f32 v56, v59, s9, -v56
	v_fmac_f32_e32 v53, 0x3ee1c552, v58
	v_add_f32_e32 v9, v9, v57
	v_sub_f32_e32 v65, v10, v64
	v_add_f32_e32 v52, v52, v57
	v_fmac_f32_e32 v56, 0x3ee1c552, v58
	v_add_f32_e32 v55, v53, v9
	v_sub_f32_e32 v9, v9, v53
	v_add_f32_e32 v10, v64, v10
	v_add_u32_e32 v53, 0x1400, v34
	v_sub_f32_e32 v59, v52, v56
	v_add_f32_e32 v52, v56, v52
	ds_write2_b32 v53, v54, v10 offset0:148 offset1:216
	v_add_u32_e32 v10, 0x1800, v34
	ds_write2_b32 v10, v52, v9 offset0:28 offset1:96
	ds_write2_b32 v10, v55, v59 offset0:164 offset1:232
	ds_write_b32 v34, v65 offset:7344
.LBB0_21:
	s_or_b64 exec, exec, s[2:3]
	v_add_f32_e32 v9, v36, v44
	v_add_f32_e32 v36, v37, v40
	;; [unrolled: 1-line block ×4, first 2 shown]
	v_sub_f32_e32 v10, v41, v47
	v_sub_f32_e32 v37, v42, v46
	;; [unrolled: 1-line block ×6, first 2 shown]
	v_add_f32_e32 v38, v38, v40
	v_add_f32_e32 v42, v39, v37
	v_sub_f32_e32 v43, v39, v37
	v_sub_f32_e32 v37, v37, v10
	v_add_f32_e32 v40, v7, v38
	v_sub_f32_e32 v39, v10, v39
	v_add_f32_e32 v10, v42, v10
	v_mul_f32_e32 v7, 0x3f4a47b2, v9
	v_mul_f32_e32 v42, 0xbf08b237, v43
	;; [unrolled: 1-line block ×3, first 2 shown]
	v_mov_b32_e32 v44, v40
	v_mul_f32_e32 v9, 0x3d64c772, v36
	v_fmac_f32_e32 v44, 0xbf955555, v38
	v_fma_f32 v38, v41, s8, -v7
	v_fmac_f32_e32 v7, 0x3d64c772, v36
	v_fma_f32 v36, v37, s6, -v42
	;; [unrolled: 2-line block ×3, first 2 shown]
	v_fma_f32 v9, v41, s7, -v9
	v_add_f32_e32 v7, v7, v44
	v_add_f32_e32 v38, v38, v44
	v_fmac_f32_e32 v42, 0x3ee1c552, v10
	v_fmac_f32_e32 v37, 0x3ee1c552, v10
	v_add_f32_e32 v9, v9, v44
	v_fmac_f32_e32 v36, 0x3ee1c552, v10
	v_sub_f32_e32 v39, v7, v42
	v_sub_f32_e32 v41, v38, v37
	v_add_f32_e32 v37, v37, v38
	v_add_f32_e32 v38, v42, v7
	;; [unrolled: 1-line block ×5, first 2 shown]
	v_sub_f32_e32 v36, v9, v36
	v_sub_f32_e32 v9, v14, v12
	v_add_f32_e32 v12, v15, v17
	v_add_f32_e32 v14, v10, v7
	v_sub_f32_e32 v11, v16, v22
	v_sub_f32_e32 v13, v20, v18
	;; [unrolled: 1-line block ×5, first 2 shown]
	v_add_f32_e32 v12, v12, v14
	v_add_f32_e32 v16, v13, v11
	v_sub_f32_e32 v17, v13, v11
	v_sub_f32_e32 v11, v11, v9
	v_add_f32_e32 v42, v8, v12
	v_sub_f32_e32 v13, v9, v13
	v_add_f32_e32 v9, v16, v9
	v_mul_f32_e32 v7, 0x3f4a47b2, v7
	v_mul_f32_e32 v14, 0xbf08b237, v17
	;; [unrolled: 1-line block ×3, first 2 shown]
	v_mov_b32_e32 v17, v42
	v_mul_f32_e32 v8, 0x3d64c772, v10
	v_fmac_f32_e32 v17, 0xbf955555, v12
	v_fma_f32 v12, v15, s8, -v7
	v_fmac_f32_e32 v7, 0x3d64c772, v10
	v_fma_f32 v10, v11, s6, -v14
	v_fma_f32 v11, v13, s9, -v16
	v_fmac_f32_e32 v14, 0x3eae86e6, v13
	v_add_f32_e32 v12, v12, v17
	v_fmac_f32_e32 v11, 0x3ee1c552, v9
	v_fma_f32 v8, v15, s7, -v8
	v_add_f32_e32 v7, v7, v17
	v_fmac_f32_e32 v14, 0x3ee1c552, v9
	v_sub_f32_e32 v45, v12, v11
	v_add_f32_e32 v52, v11, v12
	v_add_u32_e32 v11, 0xe00, v0
	v_add_f32_e32 v8, v8, v17
	v_fmac_f32_e32 v10, 0x3ee1c552, v9
	v_sub_f32_e32 v44, v7, v14
	v_add_f32_e32 v53, v14, v7
	s_waitcnt lgkmcnt(0)
	s_barrier
	v_add_u32_e32 v9, 0x600, v0
	ds_read2_b32 v[13:14], v11 offset0:56 offset1:175
	v_add_u32_e32 v11, 0x1600, v0
	v_add_u32_e32 v15, 0x200, v0
	;; [unrolled: 1-line block ×5, first 2 shown]
	v_add_f32_e32 v46, v10, v8
	v_sub_f32_e32 v47, v8, v10
	ds_read2_b32 v[7:8], v0 offset1:119
	ds_read2_b32 v[9:10], v9 offset0:92 offset1:211
	ds_read2_b32 v[11:12], v11 offset0:20 offset1:139
	;; [unrolled: 1-line block ×6, first 2 shown]
	s_waitcnt lgkmcnt(0)
	s_barrier
	ds_write2_b32 v48, v40, v39 offset1:68
	ds_write2_b32 v48, v41, v43 offset0:136 offset1:204
	ds_write2_b32 v49, v36, v37 offset0:16 offset1:84
	ds_write_b32 v48, v38 offset:1632
	ds_write2_b32 v50, v42, v44 offset1:68
	ds_write2_b32 v50, v45, v46 offset0:136 offset1:204
	ds_write2_b32 v51, v47, v52 offset0:16 offset1:84
	ds_write_b32 v50, v53 offset:1632
	s_and_saveexec_b64 s[2:3], s[0:1]
	s_cbranch_execz .LBB0_23
; %bb.22:
	v_add_f32_e32 v23, v23, v33
	v_add_f32_e32 v4, v4, v31
	;; [unrolled: 1-line block ×3, first 2 shown]
	v_sub_f32_e32 v26, v28, v26
	v_add_f32_e32 v28, v4, v23
	v_sub_f32_e32 v25, v25, v30
	v_sub_f32_e32 v29, v4, v23
	;; [unrolled: 1-line block ×4, first 2 shown]
	v_add_f32_e32 v27, v27, v28
	v_sub_f32_e32 v24, v24, v32
	v_add_f32_e32 v30, v26, v25
	v_add_f32_e32 v28, v35, v27
	v_sub_f32_e32 v31, v26, v25
	v_sub_f32_e32 v26, v24, v26
	;; [unrolled: 1-line block ×3, first 2 shown]
	v_add_f32_e32 v24, v30, v24
	v_mul_f32_e32 v30, 0x3d64c772, v4
	v_mov_b32_e32 v33, v28
	s_mov_b32 s1, 0x3f3bfb3b
	v_mul_f32_e32 v23, 0x3f4a47b2, v23
	v_mul_f32_e32 v31, 0xbf08b237, v31
	s_mov_b32 s0, 0x3f5ff5aa
	v_fmac_f32_e32 v33, 0xbf955555, v27
	v_fma_f32 v27, v29, s1, -v30
	s_mov_b32 s1, 0xbf3bfb3b
	v_mul_f32_e32 v32, 0x3f5ff5aa, v25
	v_fma_f32 v29, v29, s1, -v23
	v_fmac_f32_e32 v23, 0x3d64c772, v4
	v_fma_f32 v4, v25, s0, -v31
	v_fmac_f32_e32 v31, 0x3eae86e6, v26
	s_mov_b32 s0, 0xbeae86e6
	v_fma_f32 v25, v26, s0, -v32
	v_add_f32_e32 v23, v23, v33
	v_add_f32_e32 v26, v27, v33
	v_fmac_f32_e32 v31, 0x3ee1c552, v24
	v_fmac_f32_e32 v4, 0x3ee1c552, v24
	v_add_f32_e32 v27, v29, v33
	v_fmac_f32_e32 v25, 0x3ee1c552, v24
	v_sub_f32_e32 v24, v23, v31
	v_add_f32_e32 v30, v4, v26
	v_sub_f32_e32 v4, v26, v4
	v_add_u32_e32 v26, 0x1400, v34
	v_sub_f32_e32 v29, v27, v25
	ds_write2_b32 v26, v28, v24 offset0:148 offset1:216
	v_add_u32_e32 v24, 0x1800, v34
	v_add_f32_e32 v25, v25, v27
	v_add_f32_e32 v23, v31, v23
	ds_write2_b32 v24, v29, v30 offset0:28 offset1:96
	ds_write2_b32 v24, v4, v25 offset0:164 offset1:232
	ds_write_b32 v34, v23 offset:7344
.LBB0_23:
	s_or_b64 exec, exec, s[2:3]
	s_waitcnt lgkmcnt(0)
	s_barrier
	s_and_saveexec_b64 s[0:1], vcc
	s_cbranch_execz .LBB0_25
; %bb.24:
	v_mul_u32_u24_e32 v4, 3, v61
	v_lshlrev_b32_e32 v4, 3, v4
	global_load_dwordx4 v[23:26], v4, s[12:13] offset:3672
	global_load_dwordx2 v[39:40], v4, s[12:13] offset:3688
	v_mov_b32_e32 v4, 0xfffffe9b
	v_mov_b32_e32 v42, 0
	v_mad_u32_u24 v41, v61, 3, v4
	v_lshlrev_b64 v[27:28], 3, v[41:42]
	v_mov_b32_e32 v33, s13
	v_add_co_u32_e32 v31, vcc, s12, v27
	v_addc_co_u32_e32 v32, vcc, v33, v28, vcc
	global_load_dwordx4 v[27:30], v[31:32], off offset:3672
	global_load_dwordx2 v[43:44], v[31:32], off offset:3688
	v_mov_b32_e32 v4, 0xfffffd36
	v_mad_u32_u24 v41, v61, 3, v4
	v_lshlrev_b64 v[31:32], 3, v[41:42]
	v_mul_u32_u24_e32 v55, 3, v3
	v_add_co_u32_e32 v35, vcc, s12, v31
	v_addc_co_u32_e32 v36, vcc, v33, v32, vcc
	global_load_dwordx4 v[31:34], v[35:36], off offset:3672
	global_load_dwordx2 v[45:46], v[35:36], off offset:3688
	v_add_u32_e32 v35, 0x200, v0
	v_add_u32_e32 v36, 0x1200, v0
	;; [unrolled: 1-line block ×4, first 2 shown]
	v_lshlrev_b32_e32 v57, 3, v55
	ds_read2_b32 v[47:48], v35 offset0:110 offset1:229
	ds_read2_b32 v[49:50], v36 offset0:38 offset1:157
	;; [unrolled: 1-line block ×4, first 2 shown]
	global_load_dwordx2 v[55:56], v57, s[12:13] offset:3688
	global_load_dwordx4 v[35:38], v57, s[12:13] offset:3672
	v_mul_lo_u32 v4, s5, v5
	v_mul_lo_u32 v41, s4, v6
	v_mad_u64_u32 v[5:6], s[0:1], s4, v5, 0
	s_movk_i32 s0, 0x1000
	s_mov_b32 s2, 0x44d72045
	v_add3_u32 v6, v6, v41, v4
	v_lshlrev_b64 v[5:6], 3, v[5:6]
	s_movk_i32 s1, 0x3000
	v_add_co_u32_e32 v5, vcc, s10, v5
	s_movk_i32 s3, 0x770
	s_waitcnt vmcnt(7)
	v_mul_f32_e32 v4, v20, v26
	s_waitcnt lgkmcnt(1)
	v_mul_f32_e32 v41, v52, v24
	s_waitcnt vmcnt(6) lgkmcnt(0)
	v_mul_f32_e32 v57, v54, v40
	v_mul_f32_e32 v26, v50, v26
	;; [unrolled: 1-line block ×4, first 2 shown]
	v_fmac_f32_e32 v4, v50, v25
	v_fma_f32 v18, v18, v23, -v41
	v_fma_f32 v22, v22, v39, -v57
	;; [unrolled: 1-line block ×3, first 2 shown]
	v_fmac_f32_e32 v24, v23, v52
	v_fmac_f32_e32 v40, v39, v54
	v_sub_f32_e32 v4, v48, v4
	v_sub_f32_e32 v25, v18, v22
	;; [unrolled: 1-line block ×4, first 2 shown]
	v_add_f32_e32 v23, v4, v25
	v_fma_f32 v41, v48, 2.0, -v4
	v_fma_f32 v16, v16, 2.0, -v20
	;; [unrolled: 1-line block ×3, first 2 shown]
	s_waitcnt vmcnt(5)
	v_mul_f32_e32 v48, v19, v30
	v_mul_f32_e32 v50, v51, v28
	s_waitcnt vmcnt(4)
	v_mul_f32_e32 v52, v53, v44
	v_mul_f32_e32 v30, v49, v30
	v_sub_f32_e32 v22, v20, v26
	v_fma_f32 v26, v24, 2.0, -v26
	v_fma_f32 v25, v4, 2.0, -v23
	v_sub_f32_e32 v39, v16, v18
	v_fma_f32 v4, v17, v27, -v50
	v_fma_f32 v18, v21, v43, -v52
	;; [unrolled: 1-line block ×3, first 2 shown]
	v_mul_f32_e32 v28, v17, v28
	v_mul_f32_e32 v44, v21, v44
	v_sub_f32_e32 v40, v41, v26
	v_fmac_f32_e32 v48, v49, v29
	v_sub_f32_e32 v26, v4, v18
	v_sub_f32_e32 v30, v15, v19
	v_fma_f32 v24, v20, 2.0, -v22
	v_fmac_f32_e32 v28, v27, v51
	v_fmac_f32_e32 v44, v43, v53
	v_sub_f32_e32 v20, v47, v48
	v_fma_f32 v15, v15, 2.0, -v30
	v_fma_f32 v4, v4, 2.0, -v26
	v_sub_f32_e32 v27, v28, v44
	v_add_f32_e32 v19, v20, v26
	v_sub_f32_e32 v26, v15, v4
	v_add_u32_e32 v4, 0xe00, v0
	v_sub_f32_e32 v18, v30, v27
	v_fma_f32 v29, v47, 2.0, -v20
	v_fma_f32 v27, v28, 2.0, -v27
	;; [unrolled: 1-line block ×3, first 2 shown]
	ds_read2_b32 v[43:44], v0 offset1:119
	ds_read2_b32 v[47:48], v4 offset0:56 offset1:175
	v_add_u32_e32 v15, 0x600, v0
	v_add_u32_e32 v0, 0x1600, v0
	ds_read2_b32 v[49:50], v15 offset0:92 offset1:211
	ds_read2_b32 v[51:52], v0 offset0:20 offset1:139
	s_waitcnt vmcnt(3)
	v_mul_f32_e32 v4, v14, v34
	s_waitcnt lgkmcnt(2)
	v_fmac_f32_e32 v4, v48, v33
	v_sub_f32_e32 v0, v44, v4
	s_waitcnt lgkmcnt(1)
	v_mul_f32_e32 v4, v50, v32
	s_waitcnt vmcnt(2) lgkmcnt(0)
	v_mul_f32_e32 v15, v52, v46
	v_fma_f32 v4, v10, v31, -v4
	v_fma_f32 v15, v12, v45, -v15
	v_mul_f32_e32 v10, v10, v32
	v_mul_f32_e32 v12, v12, v46
	v_fma_f32 v21, v20, 2.0, -v19
	v_fma_f32 v20, v30, 2.0, -v18
	v_sub_f32_e32 v30, v4, v15
	v_fmac_f32_e32 v10, v31, v50
	v_fmac_f32_e32 v12, v45, v52
	v_add_f32_e32 v15, v0, v30
	v_mul_f32_e32 v34, v48, v34
	v_sub_f32_e32 v12, v10, v12
	v_fma_f32 v53, v0, 2.0, -v15
	v_fma_f32 v14, v14, v33, -v34
	v_fma_f32 v0, v44, 2.0, -v0
	v_fma_f32 v10, v10, 2.0, -v12
	v_sub_f32_e32 v34, v8, v14
	v_sub_f32_e32 v31, v0, v10
	v_fma_f32 v33, v0, 2.0, -v31
	v_fma_f32 v0, v8, 2.0, -v34
	;; [unrolled: 1-line block ×3, first 2 shown]
	v_sub_f32_e32 v30, v0, v4
	s_waitcnt vmcnt(0)
	v_mul_f32_e32 v4, v49, v36
	v_mul_f32_e32 v8, v51, v56
	v_sub_f32_e32 v14, v34, v12
	v_fma_f32 v4, v9, v35, -v4
	v_fma_f32 v8, v11, v55, -v8
	v_fma_f32 v52, v34, 2.0, -v14
	v_sub_f32_e32 v34, v4, v8
	v_mul_f32_e32 v8, v47, v38
	v_fma_f32 v32, v0, 2.0, -v30
	v_mul_f32_e32 v0, v13, v38
	v_fma_f32 v8, v13, v37, -v8
	v_fmac_f32_e32 v0, v47, v37
	v_sub_f32_e32 v13, v7, v8
	v_mul_f32_e32 v8, v9, v36
	v_mul_f32_e32 v9, v11, v56
	v_sub_f32_e32 v0, v43, v0
	v_fmac_f32_e32 v8, v35, v49
	v_fmac_f32_e32 v9, v55, v51
	v_add_f32_e32 v10, v0, v34
	v_sub_f32_e32 v35, v8, v9
	v_fma_f32 v12, v0, 2.0, -v10
	v_fma_f32 v0, v43, 2.0, -v0
	;; [unrolled: 1-line block ×3, first 2 shown]
	v_sub_f32_e32 v8, v0, v8
	v_sub_f32_e32 v9, v13, v35
	v_fma_f32 v35, v0, 2.0, -v8
	v_fma_f32 v0, v7, 2.0, -v13
	;; [unrolled: 1-line block ×3, first 2 shown]
	v_sub_f32_e32 v7, v0, v4
	v_fma_f32 v34, v0, 2.0, -v7
	v_mov_b32_e32 v0, s11
	v_addc_co_u32_e32 v6, vcc, v0, v6, vcc
	v_lshlrev_b64 v[0:1], 3, v[1:2]
	v_mov_b32_e32 v4, v42
	v_add_co_u32_e32 v2, vcc, v5, v0
	v_addc_co_u32_e32 v5, vcc, v6, v1, vcc
	v_lshlrev_b64 v[0:1], 3, v[3:4]
	v_fma_f32 v11, v13, 2.0, -v9
	v_add_co_u32_e32 v0, vcc, v2, v0
	v_addc_co_u32_e32 v1, vcc, v5, v1, vcc
	v_add_co_u32_e32 v2, vcc, s0, v0
	v_addc_co_u32_e32 v3, vcc, 0, v1, vcc
	s_movk_i32 s0, 0x2000
	v_add_co_u32_e32 v4, vcc, s0, v0
	v_addc_co_u32_e32 v5, vcc, 0, v1, vcc
	global_store_dwordx2 v[0:1], v[34:35], off
	global_store_dwordx2 v[0:1], v[11:12], off offset:3808
	global_store_dwordx2 v[2:3], v[7:8], off offset:3520
	;; [unrolled: 1-line block ×6, first 2 shown]
	v_mul_hi_u32 v4, v62, s2
	v_add_co_u32_e32 v2, vcc, s1, v0
	v_addc_co_u32_e32 v3, vcc, 0, v1, vcc
	global_store_dwordx2 v[2:3], v[14:15], off offset:88
	v_lshrrev_b32_e32 v2, 7, v4
	v_fma_f32 v17, v41, 2.0, -v40
	v_mul_u32_u24_e32 v41, 0x594, v2
	v_lshlrev_b64 v[2:3], 3, v[41:42]
	v_sub_f32_e32 v27, v29, v27
	v_add_co_u32_e32 v2, vcc, v0, v2
	v_addc_co_u32_e32 v3, vcc, v1, v3, vcc
	v_add_co_u32_e32 v4, vcc, s3, v2
	v_fma_f32 v29, v29, 2.0, -v27
	v_addc_co_u32_e32 v5, vcc, 0, v3, vcc
	global_store_dwordx2 v[2:3], v[28:29], off offset:1904
	global_store_dwordx2 v[4:5], v[20:21], off offset:3808
	v_add_co_u32_e32 v4, vcc, s0, v2
	v_addc_co_u32_e32 v5, vcc, 0, v3, vcc
	global_store_dwordx2 v[4:5], v[26:27], off offset:1328
	v_mul_hi_u32 v4, v61, s2
	v_add_co_u32_e32 v2, vcc, s1, v2
	v_addc_co_u32_e32 v3, vcc, 0, v3, vcc
	global_store_dwordx2 v[2:3], v[18:19], off offset:1040
	v_lshrrev_b32_e32 v2, 7, v4
	v_mul_u32_u24_e32 v41, 0x594, v2
	v_lshlrev_b64 v[2:3], 3, v[41:42]
	v_fma_f32 v16, v16, 2.0, -v39
	v_add_co_u32_e32 v0, vcc, v0, v2
	v_addc_co_u32_e32 v1, vcc, v1, v3, vcc
	v_add_co_u32_e32 v2, vcc, 0xb28, v0
	v_addc_co_u32_e32 v3, vcc, 0, v1, vcc
	global_store_dwordx2 v[0:1], v[16:17], off offset:2856
	global_store_dwordx2 v[2:3], v[24:25], off offset:3808
	v_add_co_u32_e32 v2, vcc, 0x2000, v0
	v_addc_co_u32_e32 v3, vcc, 0, v1, vcc
	v_add_co_u32_e32 v0, vcc, 0x3000, v0
	v_addc_co_u32_e32 v1, vcc, 0, v1, vcc
	global_store_dwordx2 v[2:3], v[39:40], off offset:2280
	global_store_dwordx2 v[0:1], v[22:23], off offset:1992
.LBB0_25:
	s_endpgm
	.section	.rodata,"a",@progbits
	.p2align	6, 0x0
	.amdhsa_kernel fft_rtc_fwd_len1904_factors_17_2_2_7_4_wgs_119_tpt_119_halfLds_sp_op_CI_CI_unitstride_sbrr_dirReg
		.amdhsa_group_segment_fixed_size 0
		.amdhsa_private_segment_fixed_size 0
		.amdhsa_kernarg_size 104
		.amdhsa_user_sgpr_count 6
		.amdhsa_user_sgpr_private_segment_buffer 1
		.amdhsa_user_sgpr_dispatch_ptr 0
		.amdhsa_user_sgpr_queue_ptr 0
		.amdhsa_user_sgpr_kernarg_segment_ptr 1
		.amdhsa_user_sgpr_dispatch_id 0
		.amdhsa_user_sgpr_flat_scratch_init 0
		.amdhsa_user_sgpr_private_segment_size 0
		.amdhsa_uses_dynamic_stack 0
		.amdhsa_system_sgpr_private_segment_wavefront_offset 0
		.amdhsa_system_sgpr_workgroup_id_x 1
		.amdhsa_system_sgpr_workgroup_id_y 0
		.amdhsa_system_sgpr_workgroup_id_z 0
		.amdhsa_system_sgpr_workgroup_info 0
		.amdhsa_system_vgpr_workitem_id 0
		.amdhsa_next_free_vgpr 100
		.amdhsa_next_free_sgpr 28
		.amdhsa_reserve_vcc 1
		.amdhsa_reserve_flat_scratch 0
		.amdhsa_float_round_mode_32 0
		.amdhsa_float_round_mode_16_64 0
		.amdhsa_float_denorm_mode_32 3
		.amdhsa_float_denorm_mode_16_64 3
		.amdhsa_dx10_clamp 1
		.amdhsa_ieee_mode 1
		.amdhsa_fp16_overflow 0
		.amdhsa_exception_fp_ieee_invalid_op 0
		.amdhsa_exception_fp_denorm_src 0
		.amdhsa_exception_fp_ieee_div_zero 0
		.amdhsa_exception_fp_ieee_overflow 0
		.amdhsa_exception_fp_ieee_underflow 0
		.amdhsa_exception_fp_ieee_inexact 0
		.amdhsa_exception_int_div_zero 0
	.end_amdhsa_kernel
	.text
.Lfunc_end0:
	.size	fft_rtc_fwd_len1904_factors_17_2_2_7_4_wgs_119_tpt_119_halfLds_sp_op_CI_CI_unitstride_sbrr_dirReg, .Lfunc_end0-fft_rtc_fwd_len1904_factors_17_2_2_7_4_wgs_119_tpt_119_halfLds_sp_op_CI_CI_unitstride_sbrr_dirReg
                                        ; -- End function
	.section	.AMDGPU.csdata,"",@progbits
; Kernel info:
; codeLenInByte = 12956
; NumSgprs: 32
; NumVgprs: 100
; ScratchSize: 0
; MemoryBound: 0
; FloatMode: 240
; IeeeMode: 1
; LDSByteSize: 0 bytes/workgroup (compile time only)
; SGPRBlocks: 3
; VGPRBlocks: 24
; NumSGPRsForWavesPerEU: 32
; NumVGPRsForWavesPerEU: 100
; Occupancy: 2
; WaveLimiterHint : 1
; COMPUTE_PGM_RSRC2:SCRATCH_EN: 0
; COMPUTE_PGM_RSRC2:USER_SGPR: 6
; COMPUTE_PGM_RSRC2:TRAP_HANDLER: 0
; COMPUTE_PGM_RSRC2:TGID_X_EN: 1
; COMPUTE_PGM_RSRC2:TGID_Y_EN: 0
; COMPUTE_PGM_RSRC2:TGID_Z_EN: 0
; COMPUTE_PGM_RSRC2:TIDIG_COMP_CNT: 0
	.type	__hip_cuid_3db49f22100269c7,@object ; @__hip_cuid_3db49f22100269c7
	.section	.bss,"aw",@nobits
	.globl	__hip_cuid_3db49f22100269c7
__hip_cuid_3db49f22100269c7:
	.byte	0                               ; 0x0
	.size	__hip_cuid_3db49f22100269c7, 1

	.ident	"AMD clang version 19.0.0git (https://github.com/RadeonOpenCompute/llvm-project roc-6.4.0 25133 c7fe45cf4b819c5991fe208aaa96edf142730f1d)"
	.section	".note.GNU-stack","",@progbits
	.addrsig
	.addrsig_sym __hip_cuid_3db49f22100269c7
	.amdgpu_metadata
---
amdhsa.kernels:
  - .args:
      - .actual_access:  read_only
        .address_space:  global
        .offset:         0
        .size:           8
        .value_kind:     global_buffer
      - .offset:         8
        .size:           8
        .value_kind:     by_value
      - .actual_access:  read_only
        .address_space:  global
        .offset:         16
        .size:           8
        .value_kind:     global_buffer
      - .actual_access:  read_only
        .address_space:  global
        .offset:         24
        .size:           8
        .value_kind:     global_buffer
      - .actual_access:  read_only
        .address_space:  global
        .offset:         32
        .size:           8
        .value_kind:     global_buffer
      - .offset:         40
        .size:           8
        .value_kind:     by_value
      - .actual_access:  read_only
        .address_space:  global
        .offset:         48
        .size:           8
        .value_kind:     global_buffer
      - .actual_access:  read_only
        .address_space:  global
        .offset:         56
        .size:           8
        .value_kind:     global_buffer
      - .offset:         64
        .size:           4
        .value_kind:     by_value
      - .actual_access:  read_only
        .address_space:  global
        .offset:         72
        .size:           8
        .value_kind:     global_buffer
      - .actual_access:  read_only
        .address_space:  global
        .offset:         80
        .size:           8
        .value_kind:     global_buffer
      - .actual_access:  read_only
        .address_space:  global
        .offset:         88
        .size:           8
        .value_kind:     global_buffer
      - .actual_access:  write_only
        .address_space:  global
        .offset:         96
        .size:           8
        .value_kind:     global_buffer
    .group_segment_fixed_size: 0
    .kernarg_segment_align: 8
    .kernarg_segment_size: 104
    .language:       OpenCL C
    .language_version:
      - 2
      - 0
    .max_flat_workgroup_size: 119
    .name:           fft_rtc_fwd_len1904_factors_17_2_2_7_4_wgs_119_tpt_119_halfLds_sp_op_CI_CI_unitstride_sbrr_dirReg
    .private_segment_fixed_size: 0
    .sgpr_count:     32
    .sgpr_spill_count: 0
    .symbol:         fft_rtc_fwd_len1904_factors_17_2_2_7_4_wgs_119_tpt_119_halfLds_sp_op_CI_CI_unitstride_sbrr_dirReg.kd
    .uniform_work_group_size: 1
    .uses_dynamic_stack: false
    .vgpr_count:     100
    .vgpr_spill_count: 0
    .wavefront_size: 64
amdhsa.target:   amdgcn-amd-amdhsa--gfx906
amdhsa.version:
  - 1
  - 2
...

	.end_amdgpu_metadata
